;; amdgpu-corpus repo=ROCm/rocFFT kind=compiled arch=gfx906 opt=O3
	.text
	.amdgcn_target "amdgcn-amd-amdhsa--gfx906"
	.amdhsa_code_object_version 6
	.protected	fft_rtc_fwd_len1530_factors_17_3_6_5_wgs_102_tpt_102_halfLds_sp_ip_CI_sbrr_dirReg ; -- Begin function fft_rtc_fwd_len1530_factors_17_3_6_5_wgs_102_tpt_102_halfLds_sp_ip_CI_sbrr_dirReg
	.globl	fft_rtc_fwd_len1530_factors_17_3_6_5_wgs_102_tpt_102_halfLds_sp_ip_CI_sbrr_dirReg
	.p2align	8
	.type	fft_rtc_fwd_len1530_factors_17_3_6_5_wgs_102_tpt_102_halfLds_sp_ip_CI_sbrr_dirReg,@function
fft_rtc_fwd_len1530_factors_17_3_6_5_wgs_102_tpt_102_halfLds_sp_ip_CI_sbrr_dirReg: ; @fft_rtc_fwd_len1530_factors_17_3_6_5_wgs_102_tpt_102_halfLds_sp_ip_CI_sbrr_dirReg
; %bb.0:
	s_load_dwordx2 s[2:3], s[4:5], 0x18
	s_load_dwordx4 s[8:11], s[4:5], 0x0
	s_load_dwordx2 s[14:15], s[4:5], 0x50
	v_mul_u32_u24_e32 v1, 0x283, v0
	v_add_u32_sdwa v5, s6, v1 dst_sel:DWORD dst_unused:UNUSED_PAD src0_sel:DWORD src1_sel:WORD_1
	s_waitcnt lgkmcnt(0)
	s_load_dwordx2 s[12:13], s[2:3], 0x0
	v_cmp_lt_u64_e64 s[0:1], s[10:11], 2
	v_mov_b32_e32 v3, 0
	v_mov_b32_e32 v1, 0
	;; [unrolled: 1-line block ×3, first 2 shown]
	s_and_b64 vcc, exec, s[0:1]
	v_mov_b32_e32 v2, 0
	s_cbranch_vccnz .LBB0_8
; %bb.1:
	s_load_dwordx2 s[0:1], s[4:5], 0x10
	s_add_u32 s6, s2, 8
	s_addc_u32 s7, s3, 0
	v_mov_b32_e32 v1, 0
	v_mov_b32_e32 v2, 0
	s_waitcnt lgkmcnt(0)
	s_add_u32 s16, s0, 8
	s_addc_u32 s17, s1, 0
	s_mov_b64 s[18:19], 1
.LBB0_2:                                ; =>This Inner Loop Header: Depth=1
	s_load_dwordx2 s[20:21], s[16:17], 0x0
                                        ; implicit-def: $vgpr7_vgpr8
	s_waitcnt lgkmcnt(0)
	v_or_b32_e32 v4, s21, v6
	v_cmp_ne_u64_e32 vcc, 0, v[3:4]
	s_and_saveexec_b64 s[0:1], vcc
	s_xor_b64 s[22:23], exec, s[0:1]
	s_cbranch_execz .LBB0_4
; %bb.3:                                ;   in Loop: Header=BB0_2 Depth=1
	v_cvt_f32_u32_e32 v4, s20
	v_cvt_f32_u32_e32 v7, s21
	s_sub_u32 s0, 0, s20
	s_subb_u32 s1, 0, s21
	v_mac_f32_e32 v4, 0x4f800000, v7
	v_rcp_f32_e32 v4, v4
	v_mul_f32_e32 v4, 0x5f7ffffc, v4
	v_mul_f32_e32 v7, 0x2f800000, v4
	v_trunc_f32_e32 v7, v7
	v_mac_f32_e32 v4, 0xcf800000, v7
	v_cvt_u32_f32_e32 v7, v7
	v_cvt_u32_f32_e32 v4, v4
	v_mul_lo_u32 v8, s0, v7
	v_mul_hi_u32 v9, s0, v4
	v_mul_lo_u32 v11, s1, v4
	v_mul_lo_u32 v10, s0, v4
	v_add_u32_e32 v8, v9, v8
	v_add_u32_e32 v8, v8, v11
	v_mul_hi_u32 v9, v4, v10
	v_mul_lo_u32 v11, v4, v8
	v_mul_hi_u32 v13, v4, v8
	v_mul_hi_u32 v12, v7, v10
	v_mul_lo_u32 v10, v7, v10
	v_mul_hi_u32 v14, v7, v8
	v_add_co_u32_e32 v9, vcc, v9, v11
	v_addc_co_u32_e32 v11, vcc, 0, v13, vcc
	v_mul_lo_u32 v8, v7, v8
	v_add_co_u32_e32 v9, vcc, v9, v10
	v_addc_co_u32_e32 v9, vcc, v11, v12, vcc
	v_addc_co_u32_e32 v10, vcc, 0, v14, vcc
	v_add_co_u32_e32 v8, vcc, v9, v8
	v_addc_co_u32_e32 v9, vcc, 0, v10, vcc
	v_add_co_u32_e32 v4, vcc, v4, v8
	v_addc_co_u32_e32 v7, vcc, v7, v9, vcc
	v_mul_lo_u32 v8, s0, v7
	v_mul_hi_u32 v9, s0, v4
	v_mul_lo_u32 v10, s1, v4
	v_mul_lo_u32 v11, s0, v4
	v_add_u32_e32 v8, v9, v8
	v_add_u32_e32 v8, v8, v10
	v_mul_lo_u32 v12, v4, v8
	v_mul_hi_u32 v13, v4, v11
	v_mul_hi_u32 v14, v4, v8
	;; [unrolled: 1-line block ×3, first 2 shown]
	v_mul_lo_u32 v11, v7, v11
	v_mul_hi_u32 v9, v7, v8
	v_add_co_u32_e32 v12, vcc, v13, v12
	v_addc_co_u32_e32 v13, vcc, 0, v14, vcc
	v_mul_lo_u32 v8, v7, v8
	v_add_co_u32_e32 v11, vcc, v12, v11
	v_addc_co_u32_e32 v10, vcc, v13, v10, vcc
	v_addc_co_u32_e32 v9, vcc, 0, v9, vcc
	v_add_co_u32_e32 v8, vcc, v10, v8
	v_addc_co_u32_e32 v9, vcc, 0, v9, vcc
	v_add_co_u32_e32 v4, vcc, v4, v8
	v_addc_co_u32_e32 v9, vcc, v7, v9, vcc
	v_mad_u64_u32 v[7:8], s[0:1], v5, v9, 0
	v_mul_hi_u32 v10, v5, v4
	v_add_co_u32_e32 v11, vcc, v10, v7
	v_addc_co_u32_e32 v12, vcc, 0, v8, vcc
	v_mad_u64_u32 v[7:8], s[0:1], v6, v4, 0
	v_mad_u64_u32 v[9:10], s[0:1], v6, v9, 0
	v_add_co_u32_e32 v4, vcc, v11, v7
	v_addc_co_u32_e32 v4, vcc, v12, v8, vcc
	v_addc_co_u32_e32 v7, vcc, 0, v10, vcc
	v_add_co_u32_e32 v4, vcc, v4, v9
	v_addc_co_u32_e32 v9, vcc, 0, v7, vcc
	v_mul_lo_u32 v10, s21, v4
	v_mul_lo_u32 v11, s20, v9
	v_mad_u64_u32 v[7:8], s[0:1], s20, v4, 0
	v_add3_u32 v8, v8, v11, v10
	v_sub_u32_e32 v10, v6, v8
	v_mov_b32_e32 v11, s21
	v_sub_co_u32_e32 v7, vcc, v5, v7
	v_subb_co_u32_e64 v10, s[0:1], v10, v11, vcc
	v_subrev_co_u32_e64 v11, s[0:1], s20, v7
	v_subbrev_co_u32_e64 v10, s[0:1], 0, v10, s[0:1]
	v_cmp_le_u32_e64 s[0:1], s21, v10
	v_cndmask_b32_e64 v12, 0, -1, s[0:1]
	v_cmp_le_u32_e64 s[0:1], s20, v11
	v_cndmask_b32_e64 v11, 0, -1, s[0:1]
	v_cmp_eq_u32_e64 s[0:1], s21, v10
	v_cndmask_b32_e64 v10, v12, v11, s[0:1]
	v_add_co_u32_e64 v11, s[0:1], 2, v4
	v_addc_co_u32_e64 v12, s[0:1], 0, v9, s[0:1]
	v_add_co_u32_e64 v13, s[0:1], 1, v4
	v_addc_co_u32_e64 v14, s[0:1], 0, v9, s[0:1]
	v_subb_co_u32_e32 v8, vcc, v6, v8, vcc
	v_cmp_ne_u32_e64 s[0:1], 0, v10
	v_cmp_le_u32_e32 vcc, s21, v8
	v_cndmask_b32_e64 v10, v14, v12, s[0:1]
	v_cndmask_b32_e64 v12, 0, -1, vcc
	v_cmp_le_u32_e32 vcc, s20, v7
	v_cndmask_b32_e64 v7, 0, -1, vcc
	v_cmp_eq_u32_e32 vcc, s21, v8
	v_cndmask_b32_e32 v7, v12, v7, vcc
	v_cmp_ne_u32_e32 vcc, 0, v7
	v_cndmask_b32_e64 v7, v13, v11, s[0:1]
	v_cndmask_b32_e32 v8, v9, v10, vcc
	v_cndmask_b32_e32 v7, v4, v7, vcc
.LBB0_4:                                ;   in Loop: Header=BB0_2 Depth=1
	s_andn2_saveexec_b64 s[0:1], s[22:23]
	s_cbranch_execz .LBB0_6
; %bb.5:                                ;   in Loop: Header=BB0_2 Depth=1
	v_cvt_f32_u32_e32 v4, s20
	s_sub_i32 s22, 0, s20
	v_rcp_iflag_f32_e32 v4, v4
	v_mul_f32_e32 v4, 0x4f7ffffe, v4
	v_cvt_u32_f32_e32 v4, v4
	v_mul_lo_u32 v7, s22, v4
	v_mul_hi_u32 v7, v4, v7
	v_add_u32_e32 v4, v4, v7
	v_mul_hi_u32 v4, v5, v4
	v_mul_lo_u32 v7, v4, s20
	v_add_u32_e32 v8, 1, v4
	v_sub_u32_e32 v7, v5, v7
	v_subrev_u32_e32 v9, s20, v7
	v_cmp_le_u32_e32 vcc, s20, v7
	v_cndmask_b32_e32 v7, v7, v9, vcc
	v_cndmask_b32_e32 v4, v4, v8, vcc
	v_add_u32_e32 v8, 1, v4
	v_cmp_le_u32_e32 vcc, s20, v7
	v_cndmask_b32_e32 v7, v4, v8, vcc
	v_mov_b32_e32 v8, v3
.LBB0_6:                                ;   in Loop: Header=BB0_2 Depth=1
	s_or_b64 exec, exec, s[0:1]
	v_mul_lo_u32 v4, v8, s20
	v_mul_lo_u32 v11, v7, s21
	v_mad_u64_u32 v[9:10], s[0:1], v7, s20, 0
	s_load_dwordx2 s[0:1], s[6:7], 0x0
	s_add_u32 s18, s18, 1
	v_add3_u32 v4, v10, v11, v4
	v_sub_co_u32_e32 v5, vcc, v5, v9
	v_subb_co_u32_e32 v4, vcc, v6, v4, vcc
	s_waitcnt lgkmcnt(0)
	v_mul_lo_u32 v4, s0, v4
	v_mul_lo_u32 v6, s1, v5
	v_mad_u64_u32 v[1:2], s[0:1], s0, v5, v[1:2]
	s_addc_u32 s19, s19, 0
	s_add_u32 s6, s6, 8
	v_add3_u32 v2, v6, v2, v4
	v_mov_b32_e32 v4, s10
	v_mov_b32_e32 v5, s11
	s_addc_u32 s7, s7, 0
	v_cmp_ge_u64_e32 vcc, s[18:19], v[4:5]
	s_add_u32 s16, s16, 8
	s_addc_u32 s17, s17, 0
	s_cbranch_vccnz .LBB0_9
; %bb.7:                                ;   in Loop: Header=BB0_2 Depth=1
	v_mov_b32_e32 v5, v7
	v_mov_b32_e32 v6, v8
	s_branch .LBB0_2
.LBB0_8:
	v_mov_b32_e32 v8, v6
	v_mov_b32_e32 v7, v5
.LBB0_9:
	s_lshl_b64 s[0:1], s[10:11], 3
	s_add_u32 s0, s2, s0
	s_addc_u32 s1, s3, s1
	s_load_dwordx2 s[2:3], s[0:1], 0x0
	s_load_dwordx2 s[6:7], s[4:5], 0x20
                                        ; implicit-def: $vgpr12
                                        ; implicit-def: $vgpr14
                                        ; implicit-def: $vgpr16
                                        ; implicit-def: $vgpr18
                                        ; implicit-def: $vgpr20
                                        ; implicit-def: $vgpr22
                                        ; implicit-def: $vgpr24
                                        ; implicit-def: $vgpr40
                                        ; implicit-def: $vgpr38
                                        ; implicit-def: $vgpr26
                                        ; implicit-def: $vgpr28
                                        ; implicit-def: $vgpr30
                                        ; implicit-def: $vgpr32
                                        ; implicit-def: $vgpr34
                                        ; implicit-def: $vgpr36
	s_waitcnt lgkmcnt(0)
	v_mad_u64_u32 v[1:2], s[0:1], s2, v7, v[1:2]
	s_mov_b32 s0, 0x2828283
	v_mul_lo_u32 v3, s2, v8
	v_mul_lo_u32 v4, s3, v7
	v_mul_hi_u32 v5, v0, s0
	v_cmp_gt_u64_e32 vcc, s[6:7], v[7:8]
	s_movk_i32 s0, 0x5a
	v_add3_u32 v2, v4, v2, v3
	v_mul_u32_u24_e32 v3, 0x66, v5
	v_sub_u32_e32 v53, v0, v3
	v_cmp_gt_u32_e64 s[0:1], s0, v53
	v_lshlrev_b64 v[0:1], 3, v[1:2]
	s_and_b64 s[2:3], vcc, s[0:1]
	v_mov_b32_e32 v4, 0
	v_mov_b32_e32 v3, 0
                                        ; implicit-def: $vgpr7
	s_and_saveexec_b64 s[4:5], s[2:3]
	s_cbranch_execz .LBB0_11
; %bb.10:
	v_mad_u64_u32 v[2:3], s[2:3], s12, v53, 0
	v_add_u32_e32 v7, 0x5a, v53
	v_mov_b32_e32 v6, s15
	v_mad_u64_u32 v[3:4], s[2:3], s13, v53, v[3:4]
	v_mad_u64_u32 v[4:5], s[2:3], s12, v7, 0
	v_add_co_u32_e64 v12, s[2:3], s14, v0
	v_addc_co_u32_e64 v13, s[2:3], v6, v1, s[2:3]
	v_mad_u64_u32 v[5:6], s[2:3], s13, v7, v[5:6]
	v_add_u32_e32 v10, 0xb4, v53
	v_mad_u64_u32 v[6:7], s[2:3], s12, v10, 0
	v_lshlrev_b64 v[2:3], 3, v[2:3]
	v_add_co_u32_e64 v8, s[2:3], v12, v2
	v_addc_co_u32_e64 v9, s[2:3], v13, v3, s[2:3]
	v_lshlrev_b64 v[2:3], 3, v[4:5]
	v_mov_b32_e32 v4, v7
	v_mad_u64_u32 v[4:5], s[2:3], s13, v10, v[4:5]
	v_add_u32_e32 v5, 0x10e, v53
	v_mad_u64_u32 v[10:11], s[2:3], s12, v5, 0
	v_add_co_u32_e64 v37, s[2:3], v12, v2
	v_mov_b32_e32 v7, v4
	v_mov_b32_e32 v4, v11
	v_addc_co_u32_e64 v38, s[2:3], v13, v3, s[2:3]
	v_lshlrev_b64 v[2:3], 3, v[6:7]
	v_mad_u64_u32 v[4:5], s[2:3], s13, v5, v[4:5]
	v_add_u32_e32 v7, 0x168, v53
	v_mad_u64_u32 v[5:6], s[2:3], s12, v7, 0
	v_add_co_u32_e64 v39, s[2:3], v12, v2
	v_mov_b32_e32 v11, v4
	v_mov_b32_e32 v4, v6
	v_addc_co_u32_e64 v40, s[2:3], v13, v3, s[2:3]
	v_mad_u64_u32 v[6:7], s[2:3], s13, v7, v[4:5]
	v_add_u32_e32 v7, 0x1c2, v53
	v_lshlrev_b64 v[2:3], 3, v[10:11]
	v_mad_u64_u32 v[10:11], s[2:3], s12, v7, 0
	v_add_co_u32_e64 v41, s[2:3], v12, v2
	v_mov_b32_e32 v4, v11
	v_addc_co_u32_e64 v42, s[2:3], v13, v3, s[2:3]
	v_lshlrev_b64 v[2:3], 3, v[5:6]
	v_mad_u64_u32 v[4:5], s[2:3], s13, v7, v[4:5]
	v_add_u32_e32 v7, 0x21c, v53
	v_mad_u64_u32 v[5:6], s[2:3], s12, v7, 0
	v_add_co_u32_e64 v43, s[2:3], v12, v2
	v_mov_b32_e32 v11, v4
	v_mov_b32_e32 v4, v6
	v_addc_co_u32_e64 v44, s[2:3], v13, v3, s[2:3]
	v_mad_u64_u32 v[6:7], s[2:3], s13, v7, v[4:5]
	v_add_u32_e32 v7, 0x276, v53
	v_lshlrev_b64 v[2:3], 3, v[10:11]
	v_mad_u64_u32 v[10:11], s[2:3], s12, v7, 0
	v_add_co_u32_e64 v45, s[2:3], v12, v2
	;; [unrolled: 15-line block ×6, first 2 shown]
	v_mov_b32_e32 v4, v11
	v_addc_co_u32_e64 v63, s[2:3], v13, v3, s[2:3]
	v_lshlrev_b64 v[2:3], 3, v[5:6]
	v_mad_u64_u32 v[4:5], s[2:3], s13, v7, v[4:5]
	v_add_u32_e32 v7, 0x5a0, v53
	v_mad_u64_u32 v[5:6], s[2:3], s12, v7, 0
	v_add_co_u32_e64 v64, s[2:3], v12, v2
	v_mov_b32_e32 v11, v4
	v_mov_b32_e32 v4, v6
	v_addc_co_u32_e64 v65, s[2:3], v13, v3, s[2:3]
	v_mad_u64_u32 v[6:7], s[2:3], s13, v7, v[4:5]
	v_lshlrev_b64 v[2:3], 3, v[10:11]
	v_add_co_u32_e64 v66, s[2:3], v12, v2
	v_addc_co_u32_e64 v67, s[2:3], v13, v3, s[2:3]
	v_lshlrev_b64 v[2:3], 3, v[5:6]
	v_add_co_u32_e64 v68, s[2:3], v12, v2
	v_addc_co_u32_e64 v69, s[2:3], v13, v3, s[2:3]
	global_load_dwordx2 v[3:4], v[8:9], off
	global_load_dwordx2 v[6:7], v[37:38], off
	;; [unrolled: 1-line block ×15, first 2 shown]
                                        ; kill: killed $vgpr64 killed $vgpr65
                                        ; kill: killed $vgpr54 killed $vgpr55
                                        ; kill: killed $vgpr43 killed $vgpr44
                                        ; kill: killed $vgpr58 killed $vgpr59
                                        ; kill: killed $vgpr47 killed $vgpr48
                                        ; kill: killed $vgpr37 killed $vgpr38
                                        ; kill: killed $vgpr62 killed $vgpr63
                                        ; kill: killed $vgpr51 killed $vgpr52
                                        ; kill: killed $vgpr41 killed $vgpr42
                                        ; kill: killed $vgpr56 killed $vgpr57
                                        ; kill: killed $vgpr45 killed $vgpr46
                                        ; kill: killed $vgpr8 killed $vgpr9
                                        ; kill: killed $vgpr60 killed $vgpr61
                                        ; kill: killed $vgpr49 killed $vgpr50
                                        ; kill: killed $vgpr39 killed $vgpr40
	global_load_dwordx2 v[37:38], v[66:67], off
	global_load_dwordx2 v[39:40], v[68:69], off
.LBB0_11:
	s_or_b64 exec, exec, s[4:5]
	s_waitcnt vmcnt(0)
	v_add_f32_e32 v55, v6, v39
	v_mul_f32_e32 v8, 0x3f6eb680, v55
	v_add_f32_e32 v60, v11, v37
	v_sub_f32_e32 v10, v7, v40
	v_mov_b32_e32 v2, v8
	v_mul_f32_e32 v9, 0x3f3d2fb0, v60
	v_fmac_f32_e32 v2, 0xbeb8f4ab, v10
	v_mul_f32_e32 v46, 0x3f3d2fb0, v55
	v_sub_f32_e32 v43, v12, v38
	v_mov_b32_e32 v41, v9
	v_add_f32_e32 v2, v3, v2
	v_mov_b32_e32 v5, v46
	v_fmac_f32_e32 v41, 0xbf2c7751, v43
	v_mul_f32_e32 v48, 0x3dbcf732, v60
	v_fmac_f32_e32 v5, 0xbf2c7751, v10
	v_add_f32_e32 v2, v2, v41
	v_mov_b32_e32 v41, v48
	v_add_f32_e32 v5, v3, v5
	v_fmac_f32_e32 v41, 0xbf7ee86f, v43
	v_add_f32_e32 v63, v13, v25
	v_add_f32_e32 v5, v5, v41
	v_mul_f32_e32 v41, 0x3ee437d1, v63
	v_sub_f32_e32 v45, v14, v26
	v_mov_b32_e32 v42, v41
	v_fmac_f32_e32 v42, 0xbf65296c, v45
	v_mul_f32_e32 v50, 0xbf1a4643, v63
	v_add_f32_e32 v2, v2, v42
	v_mov_b32_e32 v42, v50
	v_fmac_f32_e32 v42, 0xbf4c4adb, v45
	v_add_f32_e32 v65, v15, v27
	v_add_f32_e32 v5, v5, v42
	v_mul_f32_e32 v42, 0x3dbcf732, v65
	v_sub_f32_e32 v49, v16, v28
	v_mov_b32_e32 v44, v42
	v_fmac_f32_e32 v44, 0xbf7ee86f, v49
	v_mul_f32_e32 v54, 0xbf7ba420, v65
	v_add_f32_e32 v2, v2, v44
	v_mov_b32_e32 v44, v54
	;; [unrolled: 10-line block ×5, first 2 shown]
	v_fmac_f32_e32 v59, 0x3f65296c, v61
	v_add_f32_e32 v70, v23, v35
	v_add_f32_e32 v5, v5, v59
	v_mul_f32_e32 v59, 0xbf7ba420, v70
	v_sub_f32_e32 v64, v24, v36
	v_mov_b32_e32 v66, v59
	v_fmac_f32_e32 v66, 0xbe3c28d5, v64
	v_add_f32_e32 v2, v2, v66
	v_mul_f32_e32 v66, 0x3f6eb680, v70
	v_mov_b32_e32 v71, v66
	v_fmac_f32_e32 v71, 0x3eb8f4ab, v64
	s_mov_b32 s4, 0x3f6eb680
	s_mov_b32 s17, 0x3f3d2fb0
	;; [unrolled: 1-line block ×8, first 2 shown]
	v_add_f32_e32 v5, v5, v71
	s_and_saveexec_b64 s[2:3], s[0:1]
	s_cbranch_execz .LBB0_13
; %bb.12:
	v_mul_f32_e32 v71, 0xbe3c28d5, v10
	v_mov_b32_e32 v72, v71
	v_mul_f32_e32 v73, 0x3eb8f4ab, v43
	v_fmac_f32_e32 v72, 0xbf7ba420, v55
	v_mov_b32_e32 v74, v73
	v_add_f32_e32 v72, v3, v72
	v_fmac_f32_e32 v74, 0x3f6eb680, v60
	v_add_f32_e32 v72, v72, v74
	v_mul_f32_e32 v74, 0xbf06c442, v45
	v_mov_b32_e32 v75, v74
	v_fmac_f32_e32 v75, 0xbf59a7d5, v63
	v_add_f32_e32 v72, v72, v75
	v_mul_f32_e32 v75, 0x3f2c7751, v49
	v_mov_b32_e32 v76, v75
	;; [unrolled: 4-line block ×3, first 2 shown]
	v_fmac_f32_e32 v77, 0xbf1a4643, v67
	v_add_f32_e32 v72, v72, v77
	v_mul_f32_e32 v77, 0x3f65296c, v57
	v_fma_f32 v71, v55, s5, -v71
	v_mov_b32_e32 v78, v77
	v_add_f32_e32 v71, v3, v71
	v_fma_f32 v73, v60, s4, -v73
	v_fmac_f32_e32 v78, 0x3ee437d1, v68
	v_add_f32_e32 v71, v71, v73
	v_fma_f32 v73, v63, s7, -v74
	v_add_f32_e32 v72, v72, v78
	v_mul_f32_e32 v78, 0xbf763a35, v61
	v_add_f32_e32 v71, v71, v73
	v_fma_f32 v73, v65, s17, -v75
	v_mov_b32_e32 v79, v78
	v_add_f32_e32 v71, v71, v73
	v_fma_f32 v73, v67, s11, -v76
	v_fmac_f32_e32 v79, 0xbe8c1d8e, v69
	v_add_f32_e32 v71, v71, v73
	v_fma_f32 v73, v68, s6, -v77
	v_add_f32_e32 v72, v72, v79
	v_mul_f32_e32 v79, 0x3f7ee86f, v64
	v_add_f32_e32 v71, v71, v73
	v_fma_f32 v73, v69, s10, -v78
	v_add_f32_e32 v71, v71, v73
	v_fma_f32 v73, v70, s16, -v79
	v_add_f32_e32 v71, v71, v73
	v_mul_f32_e32 v73, 0xbf06c442, v10
	v_mov_b32_e32 v74, v73
	v_mul_f32_e32 v75, 0x3f65296c, v43
	v_fmac_f32_e32 v74, 0xbf59a7d5, v55
	v_mov_b32_e32 v76, v75
	v_add_f32_e32 v74, v3, v74
	v_fmac_f32_e32 v76, 0x3ee437d1, v60
	v_add_f32_e32 v74, v74, v76
	v_mul_f32_e32 v76, 0xbf7ee86f, v45
	v_mov_b32_e32 v77, v76
	v_fmac_f32_e32 v77, 0x3dbcf732, v63
	v_add_f32_e32 v74, v74, v77
	v_mul_f32_e32 v77, 0x3f4c4adb, v49
	v_mov_b32_e32 v78, v77
	v_fmac_f32_e32 v78, 0xbf1a4643, v65
	v_add_f32_e32 v74, v74, v78
	v_mul_f32_e32 v78, 0xbeb8f4ab, v52
	v_mov_b32_e32 v80, v79
	v_mov_b32_e32 v79, v78
	v_fmac_f32_e32 v79, 0x3f6eb680, v67
	v_fmac_f32_e32 v80, 0x3dbcf732, v70
	v_add_f32_e32 v74, v74, v79
	v_mul_f32_e32 v79, 0xbe3c28d5, v57
	v_fma_f32 v73, v55, s7, -v73
	v_add_f32_e32 v72, v72, v80
	v_mov_b32_e32 v80, v79
	v_add_f32_e32 v73, v3, v73
	v_fma_f32 v75, v60, s6, -v75
	v_fmac_f32_e32 v80, 0xbf7ba420, v68
	v_add_f32_e32 v73, v73, v75
	v_fma_f32 v75, v63, s16, -v76
	v_add_f32_e32 v74, v74, v80
	v_mul_f32_e32 v80, 0x3f2c7751, v61
	v_add_f32_e32 v73, v73, v75
	v_fma_f32 v75, v65, s11, -v77
	v_mov_b32_e32 v81, v80
	v_add_f32_e32 v73, v73, v75
	v_fma_f32 v75, v67, s4, -v78
	v_fmac_f32_e32 v81, 0x3f3d2fb0, v69
	v_add_f32_e32 v73, v73, v75
	v_fma_f32 v75, v68, s5, -v79
	v_add_f32_e32 v74, v74, v81
	v_mul_f32_e32 v81, 0xbf763a35, v64
	v_add_f32_e32 v73, v73, v75
	v_fma_f32 v75, v69, s17, -v80
	v_add_f32_e32 v73, v73, v75
	v_fma_f32 v75, v70, s10, -v81
	v_add_f32_e32 v73, v73, v75
	v_mul_f32_e32 v75, 0xbf4c4adb, v10
	v_mov_b32_e32 v76, v75
	v_mul_f32_e32 v77, 0x3f763a35, v43
	v_fmac_f32_e32 v76, 0xbf1a4643, v55
	v_mov_b32_e32 v78, v77
	v_add_f32_e32 v76, v3, v76
	v_fmac_f32_e32 v78, 0xbe8c1d8e, v60
	v_add_f32_e32 v76, v76, v78
	v_mul_f32_e32 v78, 0xbeb8f4ab, v45
	v_mov_b32_e32 v79, v78
	v_fmac_f32_e32 v79, 0x3f6eb680, v63
	v_add_f32_e32 v76, v76, v79
	v_mul_f32_e32 v79, 0xbf06c442, v49
	v_mov_b32_e32 v80, v79
	v_fmac_f32_e32 v80, 0xbf59a7d5, v65
	v_add_f32_e32 v76, v76, v80
	v_mul_f32_e32 v80, 0x3f7ee86f, v52
	v_mov_b32_e32 v82, v81
	v_mov_b32_e32 v81, v80
	v_fmac_f32_e32 v81, 0x3dbcf732, v67
	v_fmac_f32_e32 v82, 0xbe8c1d8e, v70
	v_add_f32_e32 v76, v76, v81
	v_mul_f32_e32 v81, 0xbf2c7751, v57
	v_fma_f32 v75, v55, s11, -v75
	v_add_f32_e32 v74, v74, v82
	;; [unrolled: 48-line block ×5, first 2 shown]
	v_mov_b32_e32 v88, v87
	v_fma_f32 v60, v60, s11, -v83
	v_add_f32_e32 v55, v3, v55
	v_fmac_f32_e32 v88, 0x3f6eb680, v68
	v_add_f32_e32 v55, v55, v60
	v_fma_f32 v60, v63, s5, -v84
	v_add_f32_e32 v82, v82, v88
	v_mul_f32_e32 v88, 0xbf7ee86f, v61
	v_add_f32_e32 v55, v55, v60
	v_fma_f32 v60, v65, s10, -v85
	v_mov_b32_e32 v89, v88
	v_add_f32_e32 v55, v55, v60
	v_fma_f32 v60, v67, s17, -v86
	v_fmac_f32_e32 v89, 0x3dbcf732, v69
	v_add_f32_e32 v55, v55, v60
	v_fma_f32 v60, v68, s4, -v87
	v_add_f32_e32 v82, v82, v89
	v_mul_f32_e32 v89, 0xbf06c442, v64
	v_add_f32_e32 v55, v55, v60
	v_fma_f32 v60, v69, s16, -v88
	v_add_f32_e32 v55, v55, v60
	v_fma_f32 v60, v70, s7, -v89
	v_add_f32_e32 v55, v55, v60
	v_mul_f32_e32 v60, 0xbf2c7751, v10
	v_mul_f32_e32 v10, 0xbeb8f4ab, v10
	v_sub_f32_e32 v46, v46, v60
	v_sub_f32_e32 v8, v8, v10
	v_add_f32_e32 v46, v3, v46
	v_add_f32_e32 v8, v3, v8
	;; [unrolled: 1-line block ×6, first 2 shown]
	v_mul_f32_e32 v60, 0xbf7ee86f, v43
	v_add_f32_e32 v3, v3, v17
	v_sub_f32_e32 v48, v48, v60
	v_add_f32_e32 v3, v3, v19
	v_add_f32_e32 v46, v46, v48
	v_mul_f32_e32 v48, 0xbf4c4adb, v45
	v_add_f32_e32 v3, v3, v21
	v_sub_f32_e32 v48, v50, v48
	v_mul_f32_e32 v43, 0xbf2c7751, v43
	v_add_f32_e32 v3, v3, v23
	v_add_f32_e32 v46, v46, v48
	v_mul_f32_e32 v48, 0xbe3c28d5, v49
	v_mul_f32_e32 v45, 0xbf65296c, v45
	v_sub_f32_e32 v9, v9, v43
	v_add_f32_e32 v3, v3, v35
	v_sub_f32_e32 v48, v54, v48
	v_mul_f32_e32 v49, 0xbf7ee86f, v49
	v_add_f32_e32 v8, v8, v9
	v_sub_f32_e32 v9, v41, v45
	v_add_f32_e32 v3, v33, v3
	v_add_f32_e32 v46, v46, v48
	v_mul_f32_e32 v48, 0xbf763a35, v52
	v_mul_f32_e32 v50, 0x3f06c442, v52
	v_add_f32_e32 v8, v8, v9
	v_sub_f32_e32 v9, v42, v49
	v_add_f32_e32 v3, v31, v3
	v_sub_f32_e32 v50, v56, v50
	v_mul_f32_e32 v52, 0xbf4c4adb, v57
	v_add_f32_e32 v8, v8, v9
	v_sub_f32_e32 v9, v44, v48
	v_add_f32_e32 v3, v29, v3
	v_mul_f32_e32 v54, 0x3f763a35, v57
	v_add_f32_e32 v46, v46, v50
	v_mul_f32_e32 v50, 0xbf06c442, v61
	v_add_f32_e32 v8, v8, v9
	v_sub_f32_e32 v9, v47, v52
	v_add_f32_e32 v3, v27, v3
	v_mul_f32_e32 v56, 0x3f65296c, v61
	v_sub_f32_e32 v54, v58, v54
	v_mul_f32_e32 v57, 0xbe3c28d5, v64
	v_add_f32_e32 v8, v8, v9
	v_sub_f32_e32 v9, v51, v50
	v_add_f32_e32 v3, v25, v3
	v_mov_b32_e32 v90, v89
	v_mul_f32_e32 v58, 0x3eb8f4ab, v64
	v_add_f32_e32 v46, v46, v54
	v_sub_f32_e32 v54, v62, v56
	v_add_f32_e32 v8, v8, v9
	v_sub_f32_e32 v9, v59, v57
	v_add_f32_e32 v3, v37, v3
	s_movk_i32 s18, 0x44
	v_fmac_f32_e32 v90, 0xbf59a7d5, v70
	v_add_f32_e32 v46, v46, v54
	v_sub_f32_e32 v54, v66, v58
	v_add_f32_e32 v8, v8, v9
	v_add_f32_e32 v3, v39, v3
	v_mad_u32_u24 v9, v53, s18, 0
	v_add_f32_e32 v82, v82, v90
	v_add_f32_e32 v46, v46, v54
	ds_write2_b32 v9, v3, v8 offset1:1
	ds_write2_b32 v9, v46, v55 offset0:2 offset1:3
	ds_write2_b32 v9, v79, v77 offset0:4 offset1:5
	;; [unrolled: 1-line block ×7, first 2 shown]
	ds_write_b32 v9, v2 offset:64
.LBB0_13:
	s_or_b64 exec, exec, s[2:3]
	v_sub_f32_e32 v74, v6, v39
	v_add_f32_e32 v73, v7, v40
	v_mul_f32_e32 v77, 0xbeb8f4ab, v74
	v_sub_f32_e32 v70, v11, v37
	v_fma_f32 v3, v73, s4, -v77
	v_mul_f32_e32 v78, 0xbf2c7751, v74
	v_add_f32_e32 v69, v12, v38
	v_mul_f32_e32 v75, 0xbf2c7751, v70
	v_add_f32_e32 v3, v4, v3
	v_fma_f32 v6, v73, s17, -v78
	v_fma_f32 v8, v69, s17, -v75
	v_mul_f32_e32 v76, 0xbf7ee86f, v70
	v_sub_f32_e32 v66, v13, v25
	v_add_f32_e32 v6, v4, v6
	v_add_f32_e32 v3, v3, v8
	v_fma_f32 v8, v69, s16, -v76
	v_add_f32_e32 v65, v14, v26
	v_mul_f32_e32 v71, 0xbf65296c, v66
	v_add_f32_e32 v6, v6, v8
	v_fma_f32 v8, v65, s6, -v71
	v_mul_f32_e32 v72, 0xbf4c4adb, v66
	v_sub_f32_e32 v62, v15, v27
	v_add_f32_e32 v3, v3, v8
	v_fma_f32 v8, v65, s11, -v72
	v_add_f32_e32 v61, v16, v28
	v_mul_f32_e32 v67, 0xbf7ee86f, v62
	v_add_f32_e32 v6, v6, v8
	v_fma_f32 v8, v61, s16, -v67
	v_mul_f32_e32 v68, 0xbe3c28d5, v62
	v_sub_f32_e32 v58, v17, v29
	;; [unrolled: 8-line block ×4, first 2 shown]
	v_add_f32_e32 v3, v3, v8
	v_fma_f32 v8, v37, s10, -v60
	v_add_f32_e32 v27, v22, v34
	v_mul_f32_e32 v55, 0xbf06c442, v29
	v_add_f32_e32 v6, v6, v8
	v_fma_f32 v8, v27, s7, -v55
	v_mul_f32_e32 v56, 0x3f65296c, v29
	v_add_f32_e32 v3, v3, v8
	v_fma_f32 v8, v27, s6, -v56
	v_sub_f32_e32 v25, v23, v35
	v_add_f32_e32 v9, v6, v8
	v_add_f32_e32 v8, v24, v36
	v_mul_f32_e32 v31, 0xbe3c28d5, v25
	v_fma_f32 v6, v8, s5, -v31
	v_lshl_add_u32 v54, v53, 2, 0
	v_add_f32_e32 v6, v3, v6
	v_add_u32_e32 v15, 0x400, v54
	v_add_u32_e32 v3, 0xe00, v54
	;; [unrolled: 1-line block ×6, first 2 shown]
	s_waitcnt lgkmcnt(0)
	s_barrier
	ds_read2_b32 v[43:44], v54 offset1:102
	ds_read2_b32 v[10:11], v15 offset0:152 offset1:254
	ds_read2_b32 v[51:52], v3 offset0:124 offset1:226
	;; [unrolled: 1-line block ×6, first 2 shown]
	ds_read_b32 v19, v54 offset:5712
	v_mul_f32_e32 v33, 0x3eb8f4ab, v25
	v_fma_f32 v35, v8, s4, -v33
	v_add_f32_e32 v9, v9, v35
	s_waitcnt lgkmcnt(0)
	s_barrier
	s_and_saveexec_b64 s[2:3], s[0:1]
	s_cbranch_execz .LBB0_15
; %bb.14:
	v_add_f32_e32 v7, v4, v7
	v_add_f32_e32 v7, v7, v12
	;; [unrolled: 1-line block ×10, first 2 shown]
	v_mul_f32_e32 v35, 0x3f6eb680, v73
	v_add_f32_e32 v7, v32, v7
	v_add_f32_e32 v7, v30, v7
	;; [unrolled: 1-line block ×3, first 2 shown]
	v_mul_f32_e32 v35, 0xbe3c28d5, v74
	v_mul_f32_e32 v79, 0x3f3d2fb0, v73
	v_add_f32_e32 v7, v28, v7
	v_mul_f32_e32 v16, 0xbf65296c, v74
	s_mov_b32 s1, 0x3ee437d1
	v_mul_f32_e32 v20, 0xbf7ee86f, v74
	s_mov_b32 s0, 0x3dbcf732
	;; [unrolled: 2-line block ×5, first 2 shown]
	s_mov_b32 s7, 0xbf7ba420
	v_mov_b32_e32 v36, v35
	v_mul_f32_e32 v80, 0x3f3d2fb0, v69
	v_add_f32_e32 v7, v26, v7
	v_add_f32_e32 v14, v79, v78
	v_fma_f32 v18, v73, s1, -v16
	v_fmac_f32_e32 v16, 0x3ee437d1, v73
	v_fma_f32 v22, v73, s0, -v20
	v_fmac_f32_e32 v20, 0x3dbcf732, v73
	;; [unrolled: 2-line block ×5, first 2 shown]
	v_fmac_f32_e32 v36, 0xbf7ba420, v73
	v_fma_f32 v35, v73, s7, -v35
	v_mul_f32_e32 v81, 0x3dbcf732, v69
	v_add_f32_e32 v12, v4, v12
	v_add_f32_e32 v14, v4, v14
	;; [unrolled: 1-line block ×18, first 2 shown]
	v_mul_f32_e32 v35, 0xbf4c4adb, v70
	v_add_f32_e32 v7, v38, v7
	v_fma_f32 v38, v69, s5, -v35
	v_fmac_f32_e32 v35, 0xbf1a4643, v69
	v_add_f32_e32 v16, v16, v35
	v_mul_f32_e32 v35, 0xbe3c28d5, v70
	v_add_f32_e32 v18, v18, v38
	v_fma_f32 v38, v69, s7, -v35
	v_fmac_f32_e32 v35, 0xbf7ba420, v69
	v_add_f32_e32 v20, v20, v35
	;; [unrolled: 5-line block ×5, first 2 shown]
	v_mul_f32_e32 v35, 0x3eb8f4ab, v70
	s_mov_b32 s11, 0x3f6eb680
	v_mul_f32_e32 v82, 0x3ee437d1, v65
	v_add_f32_e32 v34, v34, v38
	v_mov_b32_e32 v38, v35
	v_fma_f32 v35, v69, s11, -v35
	v_mul_f32_e32 v83, 0xbf1a4643, v65
	v_add_f32_e32 v4, v4, v35
	v_add_f32_e32 v35, v82, v71
	;; [unrolled: 1-line block ×4, first 2 shown]
	v_fmac_f32_e32 v38, 0x3f6eb680, v69
	v_add_f32_e32 v14, v14, v35
	v_mul_f32_e32 v35, 0x3e3c28d5, v66
	v_add_f32_e32 v36, v36, v38
	v_fma_f32 v38, v65, s7, -v35
	v_fmac_f32_e32 v35, 0xbf7ba420, v65
	v_add_f32_e32 v16, v16, v35
	v_mul_f32_e32 v35, 0x3f763a35, v66
	v_add_f32_e32 v18, v18, v38
	v_fma_f32 v38, v65, s4, -v35
	v_fmac_f32_e32 v35, 0xbe8c1d8e, v65
	v_add_f32_e32 v20, v20, v35
	v_mul_f32_e32 v35, 0x3f2c7751, v66
	s_mov_b32 s10, 0x3f3d2fb0
	v_add_f32_e32 v22, v22, v38
	v_fma_f32 v38, v65, s10, -v35
	v_fmac_f32_e32 v35, 0x3f3d2fb0, v65
	v_add_f32_e32 v24, v24, v35
	v_mul_f32_e32 v35, 0xbeb8f4ab, v66
	v_add_f32_e32 v26, v26, v38
	v_fma_f32 v38, v65, s11, -v35
	v_fmac_f32_e32 v35, 0x3f6eb680, v65
	v_add_f32_e32 v28, v28, v35
	v_mul_f32_e32 v35, 0xbf7ee86f, v66
	v_add_f32_e32 v30, v30, v38
	v_fma_f32 v38, v65, s0, -v35
	v_fmac_f32_e32 v35, 0x3dbcf732, v65
	v_add_f32_e32 v32, v32, v35
	v_mul_f32_e32 v35, 0xbf06c442, v66
	v_mul_f32_e32 v84, 0x3dbcf732, v61
	v_add_f32_e32 v34, v34, v38
	v_mov_b32_e32 v38, v35
	v_fma_f32 v35, v65, s6, -v35
	v_mul_f32_e32 v85, 0xbf7ba420, v61
	v_add_f32_e32 v4, v4, v35
	v_add_f32_e32 v35, v84, v67
	v_add_f32_e32 v12, v12, v35
	v_add_f32_e32 v35, v85, v68
	v_fmac_f32_e32 v38, 0xbf59a7d5, v65
	v_add_f32_e32 v14, v14, v35
	v_mul_f32_e32 v35, 0x3f763a35, v62
	v_add_f32_e32 v36, v36, v38
	v_fma_f32 v38, v61, s4, -v35
	v_fmac_f32_e32 v35, 0xbe8c1d8e, v61
	v_add_f32_e32 v16, v16, v35
	v_mul_f32_e32 v35, 0x3eb8f4ab, v62
	v_add_f32_e32 v18, v18, v38
	v_fma_f32 v38, v61, s11, -v35
	v_fmac_f32_e32 v35, 0x3f6eb680, v61
	v_add_f32_e32 v20, v20, v35
	v_mul_f32_e32 v35, 0xbf65296c, v62
	v_add_f32_e32 v22, v22, v38
	v_fma_f32 v38, v61, s1, -v35
	v_fmac_f32_e32 v35, 0x3ee437d1, v61
	v_add_f32_e32 v24, v24, v35
	v_mul_f32_e32 v35, 0xbf06c442, v62
	v_add_f32_e32 v26, v26, v38
	v_fma_f32 v38, v61, s6, -v35
	v_fmac_f32_e32 v35, 0xbf59a7d5, v61
	v_add_f32_e32 v28, v28, v35
	v_mul_f32_e32 v35, 0x3f4c4adb, v62
	v_add_f32_e32 v30, v30, v38
	v_fma_f32 v38, v61, s5, -v35
	v_fmac_f32_e32 v35, 0xbf1a4643, v61
	v_add_f32_e32 v32, v32, v35
	v_mul_f32_e32 v35, 0x3f2c7751, v62
	v_mul_f32_e32 v86, 0xbe8c1d8e, v57
	v_add_f32_e32 v34, v34, v38
	v_mov_b32_e32 v38, v35
	v_fma_f32 v35, v61, s10, -v35
	v_mul_f32_e32 v87, 0xbf59a7d5, v57
	v_add_f32_e32 v4, v4, v35
	v_add_f32_e32 v35, v86, v63
	v_add_f32_e32 v12, v12, v35
	v_add_f32_e32 v35, v87, v64
	v_fmac_f32_e32 v38, 0x3f3d2fb0, v61
	v_add_f32_e32 v14, v14, v35
	v_mul_f32_e32 v35, 0x3f2c7751, v58
	v_add_f32_e32 v36, v36, v38
	v_fma_f32 v38, v57, s10, -v35
	v_fmac_f32_e32 v35, 0x3f3d2fb0, v57
	v_add_f32_e32 v16, v16, v35
	v_mul_f32_e32 v35, 0xbf65296c, v58
	v_add_f32_e32 v18, v18, v38
	v_fma_f32 v38, v57, s1, -v35
	v_fmac_f32_e32 v35, 0x3ee437d1, v57
	v_add_f32_e32 v20, v20, v35
	v_mul_f32_e32 v35, 0xbe3c28d5, v58
	;; [unrolled: 37-line block ×3, first 2 shown]
	v_add_f32_e32 v22, v22, v38
	v_fma_f32 v38, v37, s0, -v35
	v_fmac_f32_e32 v35, 0x3dbcf732, v37
	v_add_f32_e32 v24, v24, v35
	v_mul_f32_e32 v35, 0xbf2c7751, v39
	v_add_f32_e32 v26, v26, v38
	v_fma_f32 v38, v37, s10, -v35
	v_fmac_f32_e32 v35, 0x3f3d2fb0, v37
	v_add_f32_e32 v28, v28, v35
	v_mul_f32_e32 v35, 0xbe3c28d5, v39
	;; [unrolled: 5-line block ×3, first 2 shown]
	v_mul_f32_e32 v90, 0xbf59a7d5, v27
	v_add_f32_e32 v34, v34, v38
	v_mov_b32_e32 v38, v35
	v_fma_f32 v35, v37, s1, -v35
	v_mul_f32_e32 v91, 0x3ee437d1, v27
	v_add_f32_e32 v4, v4, v35
	v_add_f32_e32 v35, v90, v55
	;; [unrolled: 1-line block ×5, first 2 shown]
	v_mul_f32_e32 v35, 0xbf7ee86f, v29
	v_fmac_f32_e32 v38, 0x3ee437d1, v37
	v_fma_f32 v37, v27, s0, -v35
	v_fmac_f32_e32 v35, 0x3dbcf732, v27
	v_add_f32_e32 v16, v16, v35
	v_mul_f32_e32 v35, 0x3f4c4adb, v29
	v_add_f32_e32 v18, v18, v37
	v_fma_f32 v37, v27, s5, -v35
	v_fmac_f32_e32 v35, 0xbf1a4643, v27
	v_add_f32_e32 v20, v20, v35
	v_mul_f32_e32 v35, 0xbeb8f4ab, v29
	v_add_f32_e32 v22, v22, v37
	;; [unrolled: 5-line block ×4, first 2 shown]
	v_fma_f32 v37, v27, s10, -v35
	v_fmac_f32_e32 v35, 0x3f3d2fb0, v27
	v_mul_f32_e32 v29, 0xbf763a35, v29
	v_add_f32_e32 v32, v32, v35
	v_mov_b32_e32 v35, v29
	v_mul_f32_e32 v92, 0xbf7ba420, v8
	v_fmac_f32_e32 v35, 0xbe8c1d8e, v27
	v_fma_f32 v27, v27, s4, -v29
	v_mul_f32_e32 v93, 0x3f6eb680, v8
	v_add_f32_e32 v4, v4, v27
	v_add_f32_e32 v27, v92, v31
	;; [unrolled: 1-line block ×5, first 2 shown]
	v_mul_f32_e32 v27, 0xbf06c442, v25
	v_fma_f32 v29, v8, s6, -v27
	v_fmac_f32_e32 v27, 0xbf59a7d5, v8
	v_add_f32_e32 v16, v16, v27
	v_mul_f32_e32 v27, 0x3f2c7751, v25
	v_add_f32_e32 v18, v18, v29
	v_fma_f32 v29, v8, s10, -v27
	v_fmac_f32_e32 v27, 0x3f3d2fb0, v8
	v_add_f32_e32 v20, v20, v27
	v_mul_f32_e32 v27, 0xbf4c4adb, v25
	v_add_f32_e32 v22, v22, v29
	;; [unrolled: 5-line block ×3, first 2 shown]
	v_fma_f32 v29, v8, s1, -v27
	v_fmac_f32_e32 v27, 0x3ee437d1, v8
	v_add_f32_e32 v27, v28, v27
	v_add_f32_e32 v28, v30, v29
	v_mul_f32_e32 v29, 0xbf763a35, v25
	v_mul_f32_e32 v25, 0x3f7ee86f, v25
	v_mov_b32_e32 v31, v25
	v_add_f32_e32 v36, v36, v38
	v_fma_f32 v30, v8, s4, -v29
	v_fmac_f32_e32 v29, 0xbe8c1d8e, v8
	v_fmac_f32_e32 v31, 0x3dbcf732, v8
	v_fma_f32 v8, v8, s0, -v25
	v_add_f32_e32 v7, v40, v7
	v_add_f32_e32 v34, v34, v37
	;; [unrolled: 1-line block ×4, first 2 shown]
	v_lshl_add_u32 v8, v53, 6, v54
	v_add_f32_e32 v29, v32, v29
	v_add_f32_e32 v30, v34, v30
	;; [unrolled: 1-line block ×3, first 2 shown]
	ds_write2_b32 v8, v7, v12 offset1:1
	ds_write2_b32 v8, v14, v16 offset0:2 offset1:3
	ds_write2_b32 v8, v20, v24 offset0:4 offset1:5
	;; [unrolled: 1-line block ×7, first 2 shown]
	ds_write_b32 v8, v6 offset:64
.LBB0_15:
	s_or_b64 exec, exec, s[2:3]
	v_add_u32_e32 v56, 0x66, v53
	s_movk_i32 s0, 0xf1
	v_mul_lo_u16_sdwa v4, v53, s0 dst_sel:DWORD dst_unused:UNUSED_PAD src0_sel:BYTE_0 src1_sel:DWORD
	v_mul_lo_u16_sdwa v12, v56, s0 dst_sel:DWORD dst_unused:UNUSED_PAD src0_sel:BYTE_0 src1_sel:DWORD
	v_lshrrev_b16_e32 v4, 12, v4
	v_lshrrev_b16_e32 v79, 12, v12
	v_mul_lo_u16_e32 v7, 17, v4
	v_mul_lo_u16_e32 v12, 17, v79
	v_sub_u16_e32 v18, v53, v7
	v_mov_b32_e32 v7, 4
	v_sub_u16_e32 v80, v56, v12
	v_add_u32_e32 v40, 0xcc, v53
	v_lshlrev_b32_sdwa v8, v7, v18 dst_sel:DWORD dst_unused:UNUSED_PAD src0_sel:DWORD src1_sel:BYTE_0
	v_lshlrev_b32_sdwa v7, v7, v80 dst_sel:DWORD dst_unused:UNUSED_PAD src0_sel:DWORD src1_sel:BYTE_0
	s_mov_b32 s0, 0xf0f1
	v_add_u32_e32 v57, 0x132, v53
	s_waitcnt lgkmcnt(0)
	s_barrier
	global_load_dwordx4 v[24:27], v8, s[8:9]
	global_load_dwordx4 v[61:64], v7, s[8:9]
	v_mul_u32_u24_sdwa v7, v40, s0 dst_sel:DWORD dst_unused:UNUSED_PAD src0_sel:WORD_0 src1_sel:DWORD
	v_lshrrev_b32_e32 v81, 20, v7
	v_mul_u32_u24_sdwa v8, v57, s0 dst_sel:DWORD dst_unused:UNUSED_PAD src0_sel:WORD_0 src1_sel:DWORD
	v_mul_lo_u16_e32 v7, 17, v81
	v_lshrrev_b32_e32 v83, 20, v8
	v_sub_u16_e32 v82, v40, v7
	v_mul_lo_u16_e32 v8, 17, v83
	v_lshlrev_b32_e32 v7, 4, v82
	v_sub_u16_e32 v84, v57, v8
	v_add_u32_e32 v55, 0x198, v53
	global_load_dwordx4 v[65:68], v7, s[8:9]
	v_lshlrev_b32_e32 v7, 4, v84
	global_load_dwordx4 v[69:72], v7, s[8:9]
	v_mul_u32_u24_sdwa v7, v55, s0 dst_sel:DWORD dst_unused:UNUSED_PAD src0_sel:WORD_0 src1_sel:DWORD
	v_lshrrev_b32_e32 v85, 20, v7
	v_mul_lo_u16_e32 v7, 17, v85
	v_sub_u16_e32 v86, v55, v7
	v_lshlrev_b32_e32 v7, 4, v86
	global_load_dwordx4 v[73:76], v7, s[8:9]
	ds_read2_b32 v[7:8], v54 offset1:102
	ds_read2_b32 v[15:16], v15 offset0:152 offset1:254
	ds_read2_b32 v[28:29], v3 offset0:124 offset1:226
	;; [unrolled: 1-line block ×6, first 2 shown]
	ds_read_b32 v12, v54 offset:5712
	v_mul_u32_u24_e32 v4, 0xcc, v4
	s_waitcnt vmcnt(0) lgkmcnt(0)
	s_barrier
	v_cmp_gt_u32_e64 s[0:1], 51, v53
	v_mul_f32_e32 v59, v16, v25
	v_mul_f32_e32 v39, v11, v25
	;; [unrolled: 1-line block ×3, first 2 shown]
	v_fma_f32 v59, v11, v24, -v59
	v_mul_f32_e32 v58, v51, v27
	v_mul_f32_e32 v27, v20, v62
	;; [unrolled: 1-line block ×5, first 2 shown]
	v_fma_f32 v60, v51, v26, -v25
	v_add_f32_e32 v11, v43, v59
	v_fma_f32 v51, v49, v61, -v27
	v_mul_f32_e32 v64, v21, v66
	v_mul_f32_e32 v35, v50, v66
	;; [unrolled: 1-line block ×12, first 2 shown]
	v_fma_f32 v49, v50, v65, -v64
	v_fma_f32 v50, v47, v67, -v66
	;; [unrolled: 1-line block ×4, first 2 shown]
	v_add_f32_e32 v19, v11, v60
	v_add_f32_e32 v11, v59, v60
	v_fmac_f32_e32 v39, v16, v24
	v_fmac_f32_e32 v58, v28, v26
	v_fmac_f32_e32 v37, v20, v61
	v_fma_f32 v20, -0.5, v11, v43
	v_fmac_f32_e32 v35, v21, v65
	v_sub_f32_e32 v11, v39, v58
	v_mov_b32_e32 v21, v20
	v_fma_f32 v52, v52, v63, -v62
	v_fmac_f32_e32 v21, 0x3f5db3d7, v11
	v_fmac_f32_e32 v20, 0xbf5db3d7, v11
	v_add_f32_e32 v11, v44, v51
	v_fmac_f32_e32 v32, v22, v69
	v_add_f32_e32 v22, v11, v52
	v_add_f32_e32 v11, v51, v52
	v_fmac_f32_e32 v38, v29, v63
	v_fmac_f32_e32 v44, -0.5, v11
	v_fmac_f32_e32 v14, v23, v73
	v_sub_f32_e32 v11, v37, v38
	v_mov_b32_e32 v23, v44
	v_fmac_f32_e32 v23, 0x3f5db3d7, v11
	v_fmac_f32_e32 v44, 0xbf5db3d7, v11
	v_add_f32_e32 v11, v41, v49
	v_add_f32_e32 v24, v11, v50
	;; [unrolled: 1-line block ×3, first 2 shown]
	v_fmac_f32_e32 v36, v77, v67
	v_fma_f32 v25, -0.5, v11, v41
	v_sub_f32_e32 v11, v35, v36
	v_mov_b32_e32 v26, v25
	v_fma_f32 v48, v48, v71, -v70
	v_fmac_f32_e32 v26, 0x3f5db3d7, v11
	v_fmac_f32_e32 v25, 0xbf5db3d7, v11
	v_add_f32_e32 v11, v42, v47
	v_add_f32_e32 v27, v11, v48
	;; [unrolled: 1-line block ×3, first 2 shown]
	v_fmac_f32_e32 v34, v78, v71
	v_fma_f32 v16, v46, v73, -v72
	v_fmac_f32_e32 v42, -0.5, v11
	v_fmac_f32_e32 v33, v12, v75
	v_sub_f32_e32 v11, v32, v34
	v_mov_b32_e32 v28, v42
	v_add_f32_e32 v12, v16, v45
	v_fmac_f32_e32 v28, 0x3f5db3d7, v11
	v_fmac_f32_e32 v42, 0xbf5db3d7, v11
	v_add_f32_e32 v11, v10, v16
	v_fmac_f32_e32 v10, -0.5, v12
	v_sub_f32_e32 v29, v14, v33
	v_mov_b32_e32 v12, v10
	v_fmac_f32_e32 v12, 0x3f5db3d7, v29
	v_fmac_f32_e32 v10, 0xbf5db3d7, v29
	v_mov_b32_e32 v29, 2
	v_lshlrev_b32_sdwa v18, v29, v18 dst_sel:DWORD dst_unused:UNUSED_PAD src0_sel:DWORD src1_sel:BYTE_0
	v_add3_u32 v41, 0, v4, v18
	v_mul_u32_u24_e32 v4, 0xcc, v79
	v_lshlrev_b32_sdwa v18, v29, v80 dst_sel:DWORD dst_unused:UNUSED_PAD src0_sel:DWORD src1_sel:BYTE_0
	v_add3_u32 v43, 0, v4, v18
	v_mul_u32_u24_e32 v4, 0xcc, v81
	v_lshlrev_b32_e32 v18, 2, v82
	ds_write2_b32 v41, v19, v21 offset1:17
	ds_write_b32 v41, v20 offset:136
	ds_write2_b32 v43, v22, v23 offset1:17
	ds_write_b32 v43, v44 offset:136
	v_add3_u32 v44, 0, v4, v18
	v_mul_u32_u24_e32 v4, 0xcc, v83
	v_lshlrev_b32_e32 v18, 2, v84
	v_add3_u32 v46, 0, v4, v18
	v_mul_u32_u24_e32 v4, 0xcc, v85
	v_lshlrev_b32_e32 v18, 2, v86
	v_add_f32_e32 v11, v11, v45
	ds_write2_b32 v44, v24, v26 offset1:17
	ds_write_b32 v44, v25 offset:136
	ds_write2_b32 v46, v27, v28 offset1:17
	ds_write_b32 v46, v42 offset:136
	v_add3_u32 v42, 0, v4, v18
	v_add_u32_e32 v61, 0x600, v54
	v_add_u32_e32 v62, 0xa00, v54
	ds_write2_b32 v42, v11, v12 offset1:17
	ds_write_b32 v42, v10 offset:136
	s_waitcnt lgkmcnt(0)
	s_barrier
	ds_read2_b32 v[18:19], v54 offset1:102
	ds_read2_b32 v[24:25], v17 offset0:127 offset1:229
	ds_read2_b32 v[26:27], v61 offset0:126 offset1:228
	;; [unrolled: 1-line block ×5, first 2 shown]
	s_and_saveexec_b64 s[2:3], s[0:1]
	s_cbranch_execz .LBB0_17
; %bb.16:
	v_add_u32_e32 v2, 0x330, v54
	ds_read2_b32 v[11:12], v2 offset1:255
	v_add_u32_e32 v2, 0xb28, v54
	ds_read2_b32 v[4:5], v2 offset1:255
	;; [unrolled: 2-line block ×3, first 2 shown]
	s_waitcnt lgkmcnt(1)
	v_mov_b32_e32 v10, v4
.LBB0_17:
	s_or_b64 exec, exec, s[2:3]
	v_add_f32_e32 v13, v39, v58
	v_add_f32_e32 v4, v7, v39
	v_fma_f32 v7, -0.5, v13, v7
	v_sub_f32_e32 v13, v59, v60
	v_mov_b32_e32 v17, v7
	v_fmac_f32_e32 v17, 0xbf5db3d7, v13
	v_fmac_f32_e32 v7, 0x3f5db3d7, v13
	v_add_f32_e32 v13, v8, v37
	v_add_f32_e32 v39, v13, v38
	;; [unrolled: 1-line block ×3, first 2 shown]
	v_fmac_f32_e32 v8, -0.5, v13
	v_sub_f32_e32 v13, v51, v52
	v_mov_b32_e32 v37, v8
	v_fmac_f32_e32 v37, 0xbf5db3d7, v13
	v_fmac_f32_e32 v8, 0x3f5db3d7, v13
	v_add_f32_e32 v13, v30, v35
	v_add_f32_e32 v38, v13, v36
	;; [unrolled: 1-line block ×3, first 2 shown]
	v_fma_f32 v30, -0.5, v13, v30
	v_sub_f32_e32 v13, v49, v50
	v_mov_b32_e32 v35, v30
	v_fmac_f32_e32 v35, 0xbf5db3d7, v13
	v_fmac_f32_e32 v30, 0x3f5db3d7, v13
	v_add_f32_e32 v13, v31, v32
	v_add_f32_e32 v36, v13, v34
	;; [unrolled: 1-line block ×3, first 2 shown]
	v_fmac_f32_e32 v31, -0.5, v13
	v_sub_f32_e32 v13, v47, v48
	v_mov_b32_e32 v32, v31
	v_fmac_f32_e32 v32, 0xbf5db3d7, v13
	v_fmac_f32_e32 v31, 0x3f5db3d7, v13
	v_add_f32_e32 v13, v15, v14
	v_add_f32_e32 v14, v14, v33
	v_fmac_f32_e32 v15, -0.5, v14
	v_add_f32_e32 v4, v4, v58
	v_sub_f32_e32 v16, v16, v45
	v_mov_b32_e32 v14, v15
	v_add_f32_e32 v13, v13, v33
	v_fmac_f32_e32 v14, 0xbf5db3d7, v16
	v_fmac_f32_e32 v15, 0x3f5db3d7, v16
	s_waitcnt lgkmcnt(0)
	s_barrier
	ds_write2_b32 v41, v4, v17 offset1:17
	ds_write_b32 v41, v7 offset:136
	ds_write2_b32 v43, v39, v37 offset1:17
	ds_write_b32 v43, v8 offset:136
	;; [unrolled: 2-line block ×5, first 2 shown]
	v_add_u32_e32 v4, 0x200, v54
	s_waitcnt lgkmcnt(0)
	s_barrier
	ds_read2_b32 v[16:17], v54 offset1:102
	ds_read2_b32 v[38:39], v4 offset0:127 offset1:229
	ds_read2_b32 v[36:37], v61 offset0:126 offset1:228
	;; [unrolled: 1-line block ×3, first 2 shown]
	v_add_u32_e32 v4, 0xe00, v54
	ds_read2_b32 v[32:33], v4 offset0:124 offset1:226
	v_add_u32_e32 v4, 0x1200, v54
	ds_read2_b32 v[34:35], v4 offset0:123 offset1:225
	s_and_saveexec_b64 s[2:3], s[0:1]
	s_cbranch_execz .LBB0_19
; %bb.18:
	v_add_u32_e32 v4, 0x330, v54
	ds_read2_b32 v[13:14], v4 offset1:255
	v_add_u32_e32 v4, 0xb28, v54
	ds_read2_b32 v[8:9], v4 offset1:255
	;; [unrolled: 2-line block ×3, first 2 shown]
	s_waitcnt lgkmcnt(1)
	v_mov_b32_e32 v15, v8
.LBB0_19:
	s_or_b64 exec, exec, s[2:3]
	v_subrev_u32_e32 v4, 51, v53
	v_cndmask_b32_e64 v52, v4, v53, s[0:1]
	v_mul_i32_i24_e32 v41, 5, v52
	v_mov_b32_e32 v42, 0
	v_lshlrev_b64 v[41:42], 3, v[41:42]
	v_mov_b32_e32 v4, s9
	v_add_co_u32_e64 v41, s[2:3], s8, v41
	v_addc_co_u32_e64 v42, s[2:3], v4, v42, s[2:3]
	s_movk_i32 s2, 0xa1
	v_mul_lo_u16_sdwa v8, v56, s2 dst_sel:DWORD dst_unused:UNUSED_PAD src0_sel:BYTE_0 src1_sel:DWORD
	v_lshrrev_b16_e32 v82, 13, v8
	v_mul_lo_u16_e32 v8, 51, v82
	v_mov_b32_e32 v4, 5
	v_sub_u16_e32 v83, v56, v8
	v_mul_u32_u24_sdwa v4, v83, v4 dst_sel:DWORD dst_unused:UNUSED_PAD src0_sel:BYTE_0 src1_sel:DWORD
	s_mov_b32 s2, 0xa0a1
	v_lshlrev_b32_e32 v4, 3, v4
	v_mul_u32_u24_sdwa v8, v40, s2 dst_sel:DWORD dst_unused:UNUSED_PAD src0_sel:WORD_0 src1_sel:DWORD
	global_load_dwordx4 v[46:49], v[41:42], off offset:272
	global_load_dwordx4 v[58:61], v[41:42], off offset:288
	global_load_dwordx2 v[50:51], v[41:42], off offset:304
	global_load_dwordx4 v[62:65], v4, s[8:9] offset:272
	global_load_dwordx2 v[78:79], v4, s[8:9] offset:304
	global_load_dwordx4 v[66:69], v4, s[8:9] offset:288
	v_lshrrev_b32_e32 v4, 21, v8
	v_mul_lo_u16_e32 v4, 51, v4
	v_sub_u16_e32 v84, v40, v4
	v_mul_u32_u24_e32 v4, 5, v84
	v_lshlrev_b32_e32 v4, 3, v4
	global_load_dwordx4 v[70:73], v4, s[8:9] offset:272
	global_load_dwordx4 v[74:77], v4, s[8:9] offset:288
	global_load_dwordx2 v[80:81], v4, s[8:9] offset:304
	v_cmp_lt_u32_e64 s[2:3], 50, v53
	v_lshlrev_b32_e32 v52, 2, v52
	s_waitcnt vmcnt(0) lgkmcnt(0)
	s_barrier
	v_mul_f32_e32 v4, v38, v47
	v_mul_f32_e32 v41, v24, v47
	;; [unrolled: 1-line block ×9, first 2 shown]
	v_fma_f32 v24, v24, v46, -v4
	v_fmac_f32_e32 v41, v38, v46
	v_fma_f32 v38, v26, v48, -v8
	v_fmac_f32_e32 v44, v36, v48
	v_mul_f32_e32 v48, v39, v63
	v_mul_f32_e32 v8, v25, v63
	;; [unrolled: 1-line block ×5, first 2 shown]
	v_fma_f32 v46, v28, v58, -v47
	v_fmac_f32_e32 v42, v30, v58
	v_fma_f32 v47, v20, v50, -v59
	v_mul_f32_e32 v59, v14, v71
	v_mul_f32_e32 v28, v10, v73
	;; [unrolled: 1-line block ×4, first 2 shown]
	v_fmac_f32_e32 v4, v14, v70
	v_fma_f32 v14, v5, v74, -v61
	v_fma_f32 v5, v2, v76, -v63
	v_mul_f32_e32 v2, v7, v81
	v_fma_f32 v36, v22, v60, -v49
	v_fmac_f32_e32 v45, v32, v60
	v_mul_f32_e32 v60, v15, v73
	v_fmac_f32_e32 v28, v15, v72
	v_fma_f32 v15, v3, v80, -v2
	v_mul_f32_e32 v2, v3, v81
	v_add_f32_e32 v3, v18, v38
	v_fmac_f32_e32 v30, v6, v76
	v_add_f32_e32 v6, v3, v36
	v_add_f32_e32 v3, v38, v36
	v_mul_f32_e32 v43, v20, v51
	v_mul_f32_e32 v20, v29, v67
	;; [unrolled: 1-line block ×3, first 2 shown]
	v_fmac_f32_e32 v2, v7, v80
	v_fma_f32 v7, -0.5, v3, v18
	v_fmac_f32_e32 v43, v34, v50
	v_mul_f32_e32 v50, v31, v67
	v_mul_f32_e32 v22, v21, v79
	v_fmac_f32_e32 v20, v31, v66
	v_fma_f32 v31, v21, v78, -v58
	v_fma_f32 v21, v12, v70, -v59
	v_sub_f32_e32 v3, v44, v45
	v_mov_b32_e32 v12, v7
	v_mul_f32_e32 v34, v23, v69
	v_fmac_f32_e32 v12, 0x3f5db3d7, v3
	v_fmac_f32_e32 v7, 0xbf5db3d7, v3
	v_add_f32_e32 v3, v24, v46
	v_mul_f32_e32 v51, v33, v69
	v_fmac_f32_e32 v34, v33, v68
	v_add_f32_e32 v33, v3, v47
	v_add_f32_e32 v3, v46, v47
	v_fmac_f32_e32 v24, -0.5, v3
	v_fmac_f32_e32 v26, v9, v74
	v_sub_f32_e32 v9, v42, v43
	v_mov_b32_e32 v3, v24
	v_fmac_f32_e32 v3, 0x3f5db3d7, v9
	v_fmac_f32_e32 v24, 0xbf5db3d7, v9
	v_add_f32_e32 v9, v42, v43
	v_mul_f32_e32 v32, v27, v65
	v_fmac_f32_e32 v22, v35, v78
	v_fma_f32 v9, -0.5, v9, v41
	v_sub_f32_e32 v35, v46, v47
	v_mul_f32_e32 v49, v37, v65
	v_fmac_f32_e32 v32, v37, v64
	v_mov_b32_e32 v18, v9
	v_fmac_f32_e32 v9, 0x3f5db3d7, v35
	v_mul_f32_e32 v37, -0.5, v24
	v_fma_f32 v27, v27, v64, -v49
	v_fma_f32 v23, v23, v68, -v51
	v_fmac_f32_e32 v18, 0xbf5db3d7, v35
	v_fmac_f32_e32 v37, 0x3f5db3d7, v9
	v_fma_f32 v25, v25, v62, -v48
	v_mul_f32_e32 v35, 0x3f5db3d7, v18
	v_add_f32_e32 v48, v7, v37
	v_sub_f32_e32 v51, v7, v37
	v_add_f32_e32 v7, v27, v23
	v_fma_f32 v29, v29, v66, -v50
	v_add_f32_e32 v46, v6, v33
	v_fmac_f32_e32 v35, 0.5, v3
	v_sub_f32_e32 v49, v6, v33
	v_add_f32_e32 v6, v19, v27
	v_fmac_f32_e32 v19, -0.5, v7
	v_add_f32_e32 v47, v12, v35
	v_sub_f32_e32 v50, v12, v35
	v_sub_f32_e32 v7, v32, v34
	v_mov_b32_e32 v12, v19
	v_add_f32_e32 v33, v29, v31
	v_fmac_f32_e32 v12, 0x3f5db3d7, v7
	v_fmac_f32_e32 v19, 0xbf5db3d7, v7
	v_add_f32_e32 v7, v25, v29
	v_fmac_f32_e32 v25, -0.5, v33
	v_sub_f32_e32 v35, v20, v22
	v_mov_b32_e32 v33, v25
	v_fmac_f32_e32 v8, v39, v62
	v_fmac_f32_e32 v33, 0x3f5db3d7, v35
	v_fmac_f32_e32 v25, 0xbf5db3d7, v35
	v_add_f32_e32 v35, v20, v22
	v_fma_f32 v35, -0.5, v35, v8
	v_sub_f32_e32 v29, v29, v31
	v_mov_b32_e32 v37, v35
	v_add_f32_e32 v6, v6, v23
	v_add_f32_e32 v7, v7, v31
	v_fmac_f32_e32 v37, 0xbf5db3d7, v29
	v_fma_f32 v10, v10, v72, -v60
	v_fmac_f32_e32 v35, 0x3f5db3d7, v29
	v_add_f32_e32 v31, v6, v7
	v_mul_f32_e32 v29, 0x3f5db3d7, v37
	v_sub_f32_e32 v60, v6, v7
	v_add_f32_e32 v6, v14, v15
	v_fmac_f32_e32 v29, 0.5, v33
	v_fma_f32 v6, -0.5, v6, v21
	v_add_f32_e32 v58, v12, v29
	v_sub_f32_e32 v61, v12, v29
	v_sub_f32_e32 v12, v26, v2
	v_mov_b32_e32 v7, v6
	v_mul_f32_e32 v39, -0.5, v25
	v_fmac_f32_e32 v7, 0x3f5db3d7, v12
	v_fmac_f32_e32 v6, 0xbf5db3d7, v12
	v_add_f32_e32 v12, v26, v2
	v_fmac_f32_e32 v39, 0x3f5db3d7, v35
	v_fma_f32 v12, -0.5, v12, v4
	v_add_f32_e32 v59, v19, v39
	v_sub_f32_e32 v19, v19, v39
	v_sub_f32_e32 v39, v14, v15
	v_mov_b32_e32 v29, v12
	v_fmac_f32_e32 v29, 0xbf5db3d7, v39
	v_fmac_f32_e32 v12, 0x3f5db3d7, v39
	v_mov_b32_e32 v39, 0x4c8
	v_cndmask_b32_e64 v39, 0, v39, s[2:3]
	v_add3_u32 v39, 0, v39, v52
	ds_write2_b32 v39, v46, v47 offset1:51
	ds_write2_b32 v39, v48, v49 offset0:102 offset1:153
	ds_write2_b32 v39, v50, v51 offset0:204 offset1:255
	v_mov_b32_e32 v47, 2
	v_mul_u32_u24_e32 v46, 0x4c8, v82
	v_lshlrev_b32_sdwa v47, v47, v83 dst_sel:DWORD dst_unused:UNUSED_PAD src0_sel:DWORD src1_sel:BYTE_0
	v_add3_u32 v46, 0, v46, v47
	ds_write2_b32 v46, v31, v58 offset1:51
	ds_write2_b32 v46, v59, v60 offset0:102 offset1:153
	ds_write2_b32 v46, v61, v19 offset0:204 offset1:255
	v_lshl_add_u32 v31, v84, 2, 0
	s_and_saveexec_b64 s[2:3], s[0:1]
	s_cbranch_execz .LBB0_21
; %bb.20:
	v_add_f32_e32 v19, v10, v5
	v_fma_f32 v19, -0.5, v19, v11
	v_sub_f32_e32 v47, v28, v30
	v_mov_b32_e32 v48, v19
	v_fmac_f32_e32 v48, 0xbf5db3d7, v47
	v_fmac_f32_e32 v19, 0x3f5db3d7, v47
	v_mul_f32_e32 v47, 0x3f5db3d7, v29
	v_add_f32_e32 v11, v11, v10
	v_add_f32_e32 v14, v21, v14
	v_mul_f32_e32 v49, -0.5, v6
	v_fmac_f32_e32 v47, 0.5, v7
	v_add_f32_e32 v11, v11, v5
	v_add_f32_e32 v14, v14, v15
	v_fmac_f32_e32 v49, 0x3f5db3d7, v12
	v_sub_f32_e32 v51, v19, v47
	v_sub_f32_e32 v15, v11, v14
	v_add_f32_e32 v19, v19, v47
	v_add_f32_e32 v11, v11, v14
	v_add_u32_e32 v14, 0x1000, v31
	v_add_f32_e32 v21, v48, v49
	ds_write2_b32 v14, v11, v19 offset0:200 offset1:251
	v_add_u32_e32 v11, 0x1400, v31
	v_sub_f32_e32 v50, v48, v49
	ds_write2_b32 v11, v21, v15 offset0:46 offset1:97
	ds_write2_b32 v11, v51, v50 offset0:148 offset1:199
.LBB0_21:
	s_or_b64 exec, exec, s[2:3]
	v_add_f32_e32 v14, v44, v45
	v_fma_f32 v14, -0.5, v14, v16
	v_add_f32_e32 v11, v16, v44
	v_sub_f32_e32 v15, v38, v36
	v_mov_b32_e32 v16, v14
	v_mul_f32_e32 v9, -0.5, v9
	v_fmac_f32_e32 v16, 0xbf5db3d7, v15
	v_fmac_f32_e32 v14, 0x3f5db3d7, v15
	v_add_f32_e32 v15, v41, v42
	v_mul_f32_e32 v3, 0xbf5db3d7, v3
	v_fmac_f32_e32 v9, 0xbf5db3d7, v24
	v_add_f32_e32 v15, v15, v43
	v_fmac_f32_e32 v3, 0.5, v18
	v_add_f32_e32 v41, v14, v9
	v_sub_f32_e32 v43, v14, v9
	v_add_f32_e32 v9, v32, v34
	v_add_f32_e32 v38, v16, v3
	v_sub_f32_e32 v42, v16, v3
	v_add_f32_e32 v3, v17, v32
	v_fmac_f32_e32 v17, -0.5, v9
	v_add_f32_e32 v11, v11, v45
	v_sub_f32_e32 v9, v27, v23
	v_mov_b32_e32 v14, v17
	v_add_f32_e32 v8, v8, v20
	v_add_f32_e32 v36, v11, v15
	v_sub_f32_e32 v11, v11, v15
	v_add_f32_e32 v3, v3, v34
	v_fmac_f32_e32 v14, 0xbf5db3d7, v9
	v_fmac_f32_e32 v17, 0x3f5db3d7, v9
	v_add_f32_e32 v8, v8, v22
	v_mul_f32_e32 v9, 0xbf5db3d7, v33
	v_mul_f32_e32 v15, -0.5, v35
	v_add_f32_e32 v27, v3, v8
	v_fmac_f32_e32 v9, 0.5, v37
	v_fmac_f32_e32 v15, 0xbf5db3d7, v25
	v_sub_f32_e32 v34, v3, v8
	v_add_u32_e32 v3, 0x200, v54
	v_add_f32_e32 v32, v14, v9
	v_add_f32_e32 v33, v17, v15
	v_sub_f32_e32 v35, v14, v9
	v_sub_f32_e32 v37, v17, v15
	s_waitcnt lgkmcnt(0)
	s_barrier
	ds_read2_b32 v[14:15], v3 offset0:76 offset1:178
	v_add_u32_e32 v3, 0x800, v54
	ds_read2_b32 v[18:19], v3 offset0:100 offset1:202
	v_add_u32_e32 v3, 0xc00, v54
	;; [unrolled: 2-line block ×5, first 2 shown]
	ds_read2_b32 v[8:9], v54 offset1:102
	ds_read2_b32 v[22:23], v3 offset0:124 offset1:226
	ds_read_b32 v3, v54 offset:5712
	s_waitcnt lgkmcnt(0)
	s_barrier
	ds_write2_b32 v39, v36, v38 offset1:51
	ds_write2_b32 v39, v41, v11 offset0:102 offset1:153
	ds_write2_b32 v39, v42, v43 offset0:204 offset1:255
	ds_write2_b32 v46, v27, v32 offset1:51
	ds_write2_b32 v46, v33, v34 offset0:102 offset1:153
	ds_write2_b32 v46, v35, v37 offset0:204 offset1:255
	s_and_saveexec_b64 s[2:3], s[0:1]
	s_cbranch_execz .LBB0_23
; %bb.22:
	v_add_f32_e32 v27, v28, v30
	v_add_f32_e32 v11, v13, v28
	v_fmac_f32_e32 v13, -0.5, v27
	v_sub_f32_e32 v5, v10, v5
	v_mov_b32_e32 v10, v13
	v_fmac_f32_e32 v10, 0xbf5db3d7, v5
	v_fmac_f32_e32 v13, 0x3f5db3d7, v5
	v_add_f32_e32 v4, v4, v26
	v_mul_f32_e32 v5, 0xbf5db3d7, v7
	v_add_f32_e32 v11, v11, v30
	v_add_f32_e32 v2, v4, v2
	v_fmac_f32_e32 v5, 0.5, v29
	v_mul_f32_e32 v12, -0.5, v12
	v_add_f32_e32 v4, v11, v2
	v_add_f32_e32 v7, v10, v5
	v_fmac_f32_e32 v12, 0xbf5db3d7, v6
	v_sub_f32_e32 v2, v11, v2
	v_add_u32_e32 v11, 0x1000, v31
	v_add_f32_e32 v6, v13, v12
	ds_write2_b32 v11, v4, v7 offset0:200 offset1:251
	v_add_u32_e32 v4, 0x1400, v31
	v_sub_f32_e32 v5, v10, v5
	v_sub_f32_e32 v10, v13, v12
	ds_write2_b32 v4, v6, v2 offset0:46 offset1:97
	ds_write2_b32 v4, v5, v10 offset0:148 offset1:199
.LBB0_23:
	s_or_b64 exec, exec, s[2:3]
	s_waitcnt lgkmcnt(0)
	s_barrier
	s_and_saveexec_b64 s[0:1], vcc
	s_cbranch_execz .LBB0_25
; %bb.24:
	v_lshlrev_b32_e32 v34, 2, v40
	v_mov_b32_e32 v35, 0
	v_lshlrev_b64 v[4:5], 3, v[34:35]
	v_mov_b32_e32 v36, s9
	v_add_co_u32_e32 v26, vcc, s8, v4
	v_addc_co_u32_e32 v27, vcc, v36, v5, vcc
	global_load_dwordx4 v[4:7], v[26:27], off offset:2312
	global_load_dwordx4 v[10:13], v[26:27], off offset:2328
	v_add_u32_e32 v2, 0xc00, v54
	v_add_u32_e32 v26, 0x400, v54
	;; [unrolled: 1-line block ×3, first 2 shown]
	v_lshlrev_b32_e32 v34, 2, v56
	ds_read_b32 v39, v54 offset:5712
	v_add_u32_e32 v28, 0x200, v54
	ds_read2_b32 v[37:38], v2 offset0:48 offset1:150
	ds_read2_b32 v[45:46], v26 offset0:152 offset1:254
	;; [unrolled: 1-line block ×4, first 2 shown]
	v_lshlrev_b64 v[26:27], 3, v[34:35]
	s_movk_i32 s2, 0x4c8
	v_add_co_u32_e32 v41, vcc, s8, v26
	v_addc_co_u32_e32 v42, vcc, v36, v27, vcc
	global_load_dwordx4 v[26:29], v[41:42], off offset:2328
	global_load_dwordx4 v[30:33], v[41:42], off offset:2312
	s_waitcnt vmcnt(3)
	v_mul_f32_e32 v2, v20, v7
	v_mul_f32_e32 v34, v25, v5
	s_waitcnt vmcnt(2)
	v_mul_f32_e32 v41, v23, v11
	v_mul_f32_e32 v42, v3, v13
	s_waitcnt lgkmcnt(2)
	v_mul_f32_e32 v5, v46, v5
	v_mul_f32_e32 v13, v39, v13
	;; [unrolled: 1-line block ×3, first 2 shown]
	s_waitcnt lgkmcnt(1)
	v_mul_f32_e32 v11, v48, v11
	v_fmac_f32_e32 v2, v37, v6
	v_fmac_f32_e32 v34, v46, v4
	v_fmac_f32_e32 v41, v48, v10
	v_fmac_f32_e32 v42, v39, v12
	v_fma_f32 v25, v25, v4, -v5
	v_fma_f32 v12, v3, v12, -v13
	;; [unrolled: 1-line block ×4, first 2 shown]
	v_sub_f32_e32 v3, v2, v34
	v_sub_f32_e32 v4, v41, v42
	s_waitcnt lgkmcnt(0)
	v_add_f32_e32 v13, v34, v49
	v_add_f32_e32 v46, v25, v12
	v_sub_f32_e32 v6, v34, v2
	v_sub_f32_e32 v7, v42, v41
	v_add_f32_e32 v10, v2, v41
	v_sub_f32_e32 v48, v2, v41
	v_add_f32_e32 v58, v20, v23
	v_add_f32_e32 v59, v3, v4
	v_add_f32_e32 v2, v2, v13
	v_fma_f32 v4, -0.5, v46, v14
	v_add_f32_e32 v60, v6, v7
	v_fma_f32 v11, -0.5, v10, v49
	v_fma_f32 v10, -0.5, v58, v14
	v_add_f32_e32 v2, v41, v2
	v_mov_b32_e32 v6, v4
	v_add_f32_e32 v5, v34, v42
	v_sub_f32_e32 v34, v34, v42
	v_fmac_f32_e32 v4, 0xbf737871, v48
	v_add_f32_e32 v13, v42, v2
	v_fmac_f32_e32 v6, 0x3f737871, v48
	v_mov_b32_e32 v2, v10
	v_fmac_f32_e32 v4, 0x3f167918, v34
	v_fmac_f32_e32 v6, 0xbf167918, v34
	;; [unrolled: 1-line block ×4, first 2 shown]
	v_lshlrev_b32_e32 v34, 2, v53
	v_add_f32_e32 v14, v14, v25
	v_lshlrev_b64 v[34:35], 3, v[34:35]
	v_sub_f32_e32 v43, v20, v25
	v_sub_f32_e32 v44, v23, v12
	;; [unrolled: 1-line block ×4, first 2 shown]
	v_fma_f32 v5, -0.5, v5, v49
	v_add_f32_e32 v14, v20, v14
	v_sub_f32_e32 v39, v20, v23
	v_add_f32_e32 v43, v43, v44
	v_add_f32_e32 v44, v51, v52
	v_mov_b32_e32 v7, v5
	v_add_f32_e32 v14, v14, v23
	v_add_co_u32_e32 v51, vcc, s8, v34
	v_sub_f32_e32 v37, v25, v12
	v_fmac_f32_e32 v5, 0x3f737871, v39
	v_mov_b32_e32 v3, v11
	v_fmac_f32_e32 v7, 0xbf737871, v39
	v_fmac_f32_e32 v2, 0xbf167918, v48
	v_fmac_f32_e32 v10, 0x3f167918, v48
	v_add_f32_e32 v12, v14, v12
	v_add_u32_e32 v14, 0x800, v54
	v_addc_co_u32_e32 v52, vcc, v36, v35, vcc
	v_fmac_f32_e32 v11, 0xbf737871, v37
	v_fmac_f32_e32 v5, 0xbf167918, v37
	;; [unrolled: 1-line block ×8, first 2 shown]
	ds_read2_b32 v[48:49], v14 offset0:100 offset1:202
	global_load_dwordx4 v[34:37], v[51:52], off offset:2328
	global_load_dwordx4 v[41:44], v[51:52], off offset:2312
	v_add_u32_e32 v20, 0x1200, v54
	ds_read2_b32 v[51:52], v20 offset0:72 offset1:174
	v_fmac_f32_e32 v11, 0xbf167918, v39
	v_fmac_f32_e32 v3, 0x3f167918, v39
	s_waitcnt vmcnt(2)
	v_mul_f32_e32 v14, v19, v33
	v_mul_f32_e32 v39, v24, v31
	;; [unrolled: 1-line block ×4, first 2 shown]
	s_waitcnt lgkmcnt(1)
	v_fmac_f32_e32 v14, v49, v32
	v_fmac_f32_e32 v39, v45, v30
	;; [unrolled: 1-line block ×3, first 2 shown]
	s_waitcnt lgkmcnt(0)
	v_fmac_f32_e32 v58, v52, v28
	v_sub_f32_e32 v20, v14, v39
	v_sub_f32_e32 v23, v46, v58
	v_fmac_f32_e32 v5, 0x3e9e377a, v59
	v_fmac_f32_e32 v7, 0x3e9e377a, v59
	v_add_f32_e32 v59, v20, v23
	v_mul_f32_e32 v20, v45, v31
	v_mul_f32_e32 v25, v49, v33
	v_fma_f32 v31, v24, v30, -v20
	v_mul_f32_e32 v20, v52, v29
	v_fma_f32 v33, v19, v32, -v25
	;; [unrolled: 2-line block ×3, first 2 shown]
	v_fma_f32 v22, v22, v26, -v19
	ds_read2_b32 v[23:24], v54 offset1:102
	v_sub_f32_e32 v19, v33, v31
	v_sub_f32_e32 v25, v22, v17
	v_add_f32_e32 v27, v19, v25
	v_add_f32_e32 v19, v31, v17
	v_fma_f32 v19, -0.5, v19, v9
	v_sub_f32_e32 v49, v14, v46
	v_mov_b32_e32 v25, v19
	v_add_f32_e32 v20, v39, v58
	v_fmac_f32_e32 v25, 0x3f737871, v49
	v_sub_f32_e32 v52, v39, v58
	v_fmac_f32_e32 v19, 0xbf737871, v49
	s_waitcnt lgkmcnt(0)
	v_fma_f32 v20, -0.5, v20, v24
	v_fmac_f32_e32 v25, 0xbf167918, v52
	v_fmac_f32_e32 v19, 0x3f167918, v52
	v_sub_f32_e32 v47, v33, v22
	v_mov_b32_e32 v26, v20
	v_fmac_f32_e32 v25, 0x3e9e377a, v27
	v_fmac_f32_e32 v19, 0x3e9e377a, v27
	v_sub_f32_e32 v27, v39, v14
	v_sub_f32_e32 v28, v58, v46
	;; [unrolled: 1-line block ×3, first 2 shown]
	v_fmac_f32_e32 v26, 0xbf737871, v47
	v_fmac_f32_e32 v20, 0x3f737871, v47
	v_add_f32_e32 v54, v27, v28
	v_add_f32_e32 v27, v14, v46
	v_fmac_f32_e32 v26, 0x3f167918, v45
	v_fmac_f32_e32 v20, 0xbf167918, v45
	v_fma_f32 v28, -0.5, v27, v24
	v_sub_f32_e32 v27, v31, v33
	v_sub_f32_e32 v29, v17, v22
	v_fmac_f32_e32 v26, 0x3e9e377a, v59
	v_fmac_f32_e32 v20, 0x3e9e377a, v59
	v_add_f32_e32 v59, v27, v29
	v_add_f32_e32 v27, v33, v22
	v_fma_f32 v27, -0.5, v27, v9
	v_add_f32_e32 v9, v9, v31
	v_add_f32_e32 v9, v33, v9
	v_mov_b32_e32 v30, v28
	v_add_f32_e32 v24, v39, v24
	v_add_f32_e32 v9, v9, v22
	v_fmac_f32_e32 v30, 0xbf737871, v45
	v_add_f32_e32 v14, v14, v24
	v_add_f32_e32 v31, v9, v17
	v_fmac_f32_e32 v28, 0x3f737871, v45
	;; [unrolled: 3-line block ×3, first 2 shown]
	v_fmac_f32_e32 v28, 0x3f167918, v47
	v_mov_b32_e32 v29, v27
	v_fmac_f32_e32 v29, 0x3f737871, v52
	v_fmac_f32_e32 v29, 0x3f167918, v49
	;; [unrolled: 1-line block ×3, first 2 shown]
	s_waitcnt vmcnt(1)
	v_mul_f32_e32 v39, v16, v37
	s_waitcnt vmcnt(0)
	v_mul_f32_e32 v9, v15, v42
	v_mul_f32_e32 v24, v18, v44
	;; [unrolled: 1-line block ×3, first 2 shown]
	v_fmac_f32_e32 v9, v50, v41
	v_fmac_f32_e32 v24, v48, v43
	v_fmac_f32_e32 v39, v51, v36
	v_fmac_f32_e32 v45, v38, v34
	v_sub_f32_e32 v14, v9, v24
	v_sub_f32_e32 v17, v39, v45
	v_add_f32_e32 v46, v14, v17
	v_mul_f32_e32 v14, v48, v44
	v_fma_f32 v18, v18, v43, -v14
	v_mul_f32_e32 v14, v38, v35
	v_fma_f32 v38, v21, v34, -v14
	;; [unrolled: 2-line block ×3, first 2 shown]
	v_mul_f32_e32 v14, v51, v37
	v_sub_f32_e32 v21, v24, v9
	v_sub_f32_e32 v22, v45, v39
	v_fma_f32 v37, v16, v36, -v14
	v_add_f32_e32 v14, v24, v45
	v_sub_f32_e32 v43, v9, v39
	v_add_f32_e32 v47, v21, v22
	v_add_f32_e32 v21, v9, v39
	;; [unrolled: 1-line block ×3, first 2 shown]
	v_fma_f32 v15, -0.5, v14, v23
	v_sub_f32_e32 v44, v24, v45
	v_fma_f32 v22, -0.5, v21, v23
	v_add_f32_e32 v9, v24, v9
	v_mad_u64_u32 v[23:24], s[0:1], s12, v53, 0
	v_sub_f32_e32 v14, v41, v18
	v_sub_f32_e32 v16, v37, v38
	;; [unrolled: 1-line block ×6, first 2 shown]
	v_mov_b32_e32 v17, v15
	v_add_f32_e32 v42, v14, v16
	v_add_f32_e32 v14, v18, v38
	v_mov_b32_e32 v34, v22
	v_add_f32_e32 v48, v21, v33
	v_add_f32_e32 v21, v41, v37
	;; [unrolled: 1-line block ×3, first 2 shown]
	v_fmac_f32_e32 v17, 0x3f737871, v36
	v_fma_f32 v14, -0.5, v14, v8
	v_fmac_f32_e32 v34, 0xbf737871, v35
	v_fma_f32 v21, -0.5, v21, v8
	v_fmac_f32_e32 v22, 0x3f737871, v35
	v_fmac_f32_e32 v15, 0xbf737871, v36
	v_add_f32_e32 v9, v39, v9
	v_add_f32_e32 v39, v8, v41
	v_mov_b32_e32 v8, v24
	v_fmac_f32_e32 v17, 0x3f167918, v35
	v_fmac_f32_e32 v34, 0x3f167918, v36
	;; [unrolled: 1-line block ×4, first 2 shown]
	v_mad_u64_u32 v[35:36], s[0:1], s13, v53, v[8:9]
	v_add_f32_e32 v8, v39, v18
	v_add_f32_e32 v8, v8, v38
	v_mov_b32_e32 v24, v35
	v_mov_b32_e32 v18, s15
	v_add_co_u32_e32 v38, vcc, s14, v0
	v_addc_co_u32_e32 v39, vcc, v18, v1, vcc
	v_lshlrev_b64 v[0:1], 3, v[23:24]
	v_mad_u64_u32 v[23:24], s[0:1], s12, v57, 0
	v_add_f32_e32 v8, v37, v8
	v_add_co_u32_e32 v0, vcc, v38, v0
	v_mov_b32_e32 v18, v24
	v_mad_u64_u32 v[35:36], s[0:1], s13, v57, v[18:19]
	v_add_u32_e32 v18, 0x264, v53
	v_mad_u64_u32 v[36:37], s[0:1], s12, v18, 0
	v_addc_co_u32_e32 v1, vcc, v39, v1, vcc
	v_mov_b32_e32 v24, v35
	global_store_dwordx2 v[0:1], v[8:9], off
	v_lshlrev_b64 v[0:1], 3, v[23:24]
	v_mov_b32_e32 v8, v37
	v_mov_b32_e32 v16, v14
	v_fmac_f32_e32 v14, 0x3f737871, v43
	v_mad_u64_u32 v[8:9], s[0:1], s13, v18, v[8:9]
	v_fmac_f32_e32 v14, 0x3f167918, v44
	v_add_co_u32_e32 v0, vcc, v38, v0
	v_fmac_f32_e32 v15, 0x3e9e377a, v46
	v_fmac_f32_e32 v14, 0x3e9e377a, v42
	v_addc_co_u32_e32 v1, vcc, v39, v1, vcc
	global_store_dwordx2 v[0:1], v[14:15], off
	v_add_u32_e32 v14, 0x396, v53
	v_mov_b32_e32 v37, v8
	v_mad_u64_u32 v[8:9], s[0:1], s12, v14, 0
	v_lshlrev_b64 v[0:1], 3, v[36:37]
	v_mov_b32_e32 v33, v21
	v_mad_u64_u32 v[14:15], s[0:1], s13, v14, v[9:10]
	v_add_u32_e32 v15, 0x4c8, v53
	v_mad_u64_u32 v[23:24], s[0:1], s12, v15, 0
	v_fmac_f32_e32 v21, 0xbf737871, v44
	v_fmac_f32_e32 v21, 0x3f167918, v43
	v_add_co_u32_e32 v0, vcc, v38, v0
	v_fmac_f32_e32 v22, 0x3e9e377a, v47
	v_fmac_f32_e32 v21, 0x3e9e377a, v48
	v_addc_co_u32_e32 v1, vcc, v39, v1, vcc
	v_mov_b32_e32 v9, v14
	global_store_dwordx2 v[0:1], v[21:22], off
	v_lshlrev_b64 v[0:1], 3, v[8:9]
	v_mov_b32_e32 v8, v24
	v_mad_u64_u32 v[8:9], s[0:1], s13, v15, v[8:9]
	v_fmac_f32_e32 v33, 0x3f737871, v44
	v_fmac_f32_e32 v33, 0xbf167918, v43
	v_mov_b32_e32 v24, v8
	v_mad_u64_u32 v[8:9], s[0:1], s12, v56, 0
	v_add_co_u32_e32 v0, vcc, v38, v0
	v_fmac_f32_e32 v34, 0x3e9e377a, v47
	v_fmac_f32_e32 v33, 0x3e9e377a, v48
	v_addc_co_u32_e32 v1, vcc, v39, v1, vcc
	v_mad_u64_u32 v[14:15], s[0:1], s13, v56, v[9:10]
	global_store_dwordx2 v[0:1], v[33:34], off
	v_lshlrev_b64 v[0:1], 3, v[23:24]
	v_mad_u64_u32 v[21:22], s[0:1], s12, v55, 0
	v_fmac_f32_e32 v16, 0xbf737871, v43
	v_fmac_f32_e32 v16, 0xbf167918, v44
	v_add_co_u32_e32 v0, vcc, v38, v0
	v_fmac_f32_e32 v17, 0x3e9e377a, v46
	v_fmac_f32_e32 v16, 0x3e9e377a, v42
	v_addc_co_u32_e32 v1, vcc, v39, v1, vcc
	v_mov_b32_e32 v9, v14
	global_store_dwordx2 v[0:1], v[16:17], off
	v_lshlrev_b64 v[0:1], 3, v[8:9]
	v_mov_b32_e32 v8, v22
	v_mad_u64_u32 v[8:9], s[0:1], s13, v55, v[8:9]
	v_add_u32_e32 v14, 0x2ca, v53
	v_add_co_u32_e32 v0, vcc, v38, v0
	v_mov_b32_e32 v22, v8
	v_mad_u64_u32 v[8:9], s[0:1], s12, v14, 0
	v_addc_co_u32_e32 v1, vcc, v39, v1, vcc
	v_mad_u64_u32 v[14:15], s[0:1], s13, v14, v[9:10]
	v_add_u32_e32 v17, 0x3fc, v53
	global_store_dwordx2 v[0:1], v[31:32], off
	v_lshlrev_b64 v[0:1], 3, v[21:22]
	v_mad_u64_u32 v[15:16], s[0:1], s12, v17, 0
	v_add_co_u32_e32 v0, vcc, v38, v0
	v_fmac_f32_e32 v29, 0x3e9e377a, v59
	v_addc_co_u32_e32 v1, vcc, v39, v1, vcc
	v_mov_b32_e32 v9, v14
	global_store_dwordx2 v[0:1], v[29:30], off
	v_lshlrev_b64 v[0:1], 3, v[8:9]
	v_mov_b32_e32 v8, v16
	v_mad_u64_u32 v[8:9], s[0:1], s13, v17, v[8:9]
	v_add_u32_e32 v14, 0x52e, v53
	v_add_co_u32_e32 v0, vcc, v38, v0
	v_mov_b32_e32 v16, v8
	v_mad_u64_u32 v[8:9], s[0:1], s12, v14, 0
	v_addc_co_u32_e32 v1, vcc, v39, v1, vcc
	s_mov_b32 s0, 0xd62b80d7
	global_store_dwordx2 v[0:1], v[19:20], off
	v_lshlrev_b64 v[0:1], 3, v[15:16]
	v_mul_hi_u32 v16, v40, s0
	v_mad_u64_u32 v[14:15], s[0:1], s13, v14, v[9:10]
	v_add_co_u32_e32 v0, vcc, v38, v0
	v_lshrrev_b32_e32 v9, 8, v16
	v_mad_u32_u24 v17, v9, s2, v40
	v_mad_u64_u32 v[15:16], s[0:1], s12, v17, 0
	v_addc_co_u32_e32 v1, vcc, v39, v1, vcc
	v_mov_b32_e32 v9, v14
	global_store_dwordx2 v[0:1], v[25:26], off
	v_lshlrev_b64 v[0:1], 3, v[8:9]
	v_mov_b32_e32 v8, v16
	v_mad_u64_u32 v[8:9], s[0:1], s13, v17, v[8:9]
	v_add_u32_e32 v14, 0x132, v17
	v_fmac_f32_e32 v27, 0xbf737871, v52
	v_mov_b32_e32 v16, v8
	v_mad_u64_u32 v[8:9], s[0:1], s12, v14, 0
	v_fmac_f32_e32 v27, 0xbf167918, v49
	v_add_co_u32_e32 v0, vcc, v38, v0
	v_fmac_f32_e32 v28, 0x3e9e377a, v54
	v_fmac_f32_e32 v27, 0x3e9e377a, v59
	v_addc_co_u32_e32 v1, vcc, v39, v1, vcc
	global_store_dwordx2 v[0:1], v[27:28], off
	v_lshlrev_b64 v[0:1], 3, v[15:16]
	v_mad_u64_u32 v[14:15], s[0:1], s13, v14, v[9:10]
	v_add_u32_e32 v18, 0x264, v17
	v_mad_u64_u32 v[15:16], s[0:1], s12, v18, 0
	v_add_co_u32_e32 v0, vcc, v38, v0
	v_addc_co_u32_e32 v1, vcc, v39, v1, vcc
	v_mov_b32_e32 v9, v14
	global_store_dwordx2 v[0:1], v[12:13], off
	v_lshlrev_b64 v[0:1], 3, v[8:9]
	v_mov_b32_e32 v8, v16
	v_mad_u64_u32 v[8:9], s[0:1], s13, v18, v[8:9]
	v_add_co_u32_e32 v0, vcc, v38, v0
	v_fmac_f32_e32 v11, 0x3e9e377a, v60
	v_addc_co_u32_e32 v1, vcc, v39, v1, vcc
	global_store_dwordx2 v[0:1], v[10:11], off
	v_add_u32_e32 v10, 0x396, v17
	v_mov_b32_e32 v16, v8
	v_mad_u64_u32 v[8:9], s[0:1], s12, v10, 0
	v_add_u32_e32 v12, 0x4c8, v17
	v_lshlrev_b64 v[0:1], 3, v[15:16]
	v_mad_u64_u32 v[9:10], s[0:1], s13, v10, v[9:10]
	v_mad_u64_u32 v[10:11], s[0:1], s12, v12, 0
	v_add_co_u32_e32 v0, vcc, v38, v0
	v_addc_co_u32_e32 v1, vcc, v39, v1, vcc
	global_store_dwordx2 v[0:1], v[4:5], off
	v_mov_b32_e32 v4, v11
	v_mad_u64_u32 v[4:5], s[0:1], s13, v12, v[4:5]
	v_lshlrev_b64 v[0:1], 3, v[8:9]
	v_fmac_f32_e32 v3, 0x3e9e377a, v60
	v_add_co_u32_e32 v0, vcc, v38, v0
	v_addc_co_u32_e32 v1, vcc, v39, v1, vcc
	v_mov_b32_e32 v11, v4
	global_store_dwordx2 v[0:1], v[6:7], off
	v_lshlrev_b64 v[0:1], 3, v[10:11]
	v_add_co_u32_e32 v0, vcc, v38, v0
	v_addc_co_u32_e32 v1, vcc, v39, v1, vcc
	global_store_dwordx2 v[0:1], v[2:3], off
.LBB0_25:
	s_endpgm
	.section	.rodata,"a",@progbits
	.p2align	6, 0x0
	.amdhsa_kernel fft_rtc_fwd_len1530_factors_17_3_6_5_wgs_102_tpt_102_halfLds_sp_ip_CI_sbrr_dirReg
		.amdhsa_group_segment_fixed_size 0
		.amdhsa_private_segment_fixed_size 0
		.amdhsa_kernarg_size 88
		.amdhsa_user_sgpr_count 6
		.amdhsa_user_sgpr_private_segment_buffer 1
		.amdhsa_user_sgpr_dispatch_ptr 0
		.amdhsa_user_sgpr_queue_ptr 0
		.amdhsa_user_sgpr_kernarg_segment_ptr 1
		.amdhsa_user_sgpr_dispatch_id 0
		.amdhsa_user_sgpr_flat_scratch_init 0
		.amdhsa_user_sgpr_private_segment_size 0
		.amdhsa_uses_dynamic_stack 0
		.amdhsa_system_sgpr_private_segment_wavefront_offset 0
		.amdhsa_system_sgpr_workgroup_id_x 1
		.amdhsa_system_sgpr_workgroup_id_y 0
		.amdhsa_system_sgpr_workgroup_id_z 0
		.amdhsa_system_sgpr_workgroup_info 0
		.amdhsa_system_vgpr_workitem_id 0
		.amdhsa_next_free_vgpr 94
		.amdhsa_next_free_sgpr 24
		.amdhsa_reserve_vcc 1
		.amdhsa_reserve_flat_scratch 0
		.amdhsa_float_round_mode_32 0
		.amdhsa_float_round_mode_16_64 0
		.amdhsa_float_denorm_mode_32 3
		.amdhsa_float_denorm_mode_16_64 3
		.amdhsa_dx10_clamp 1
		.amdhsa_ieee_mode 1
		.amdhsa_fp16_overflow 0
		.amdhsa_exception_fp_ieee_invalid_op 0
		.amdhsa_exception_fp_denorm_src 0
		.amdhsa_exception_fp_ieee_div_zero 0
		.amdhsa_exception_fp_ieee_overflow 0
		.amdhsa_exception_fp_ieee_underflow 0
		.amdhsa_exception_fp_ieee_inexact 0
		.amdhsa_exception_int_div_zero 0
	.end_amdhsa_kernel
	.text
.Lfunc_end0:
	.size	fft_rtc_fwd_len1530_factors_17_3_6_5_wgs_102_tpt_102_halfLds_sp_ip_CI_sbrr_dirReg, .Lfunc_end0-fft_rtc_fwd_len1530_factors_17_3_6_5_wgs_102_tpt_102_halfLds_sp_ip_CI_sbrr_dirReg
                                        ; -- End function
	.section	.AMDGPU.csdata,"",@progbits
; Kernel info:
; codeLenInByte = 13032
; NumSgprs: 28
; NumVgprs: 94
; ScratchSize: 0
; MemoryBound: 0
; FloatMode: 240
; IeeeMode: 1
; LDSByteSize: 0 bytes/workgroup (compile time only)
; SGPRBlocks: 3
; VGPRBlocks: 23
; NumSGPRsForWavesPerEU: 28
; NumVGPRsForWavesPerEU: 94
; Occupancy: 2
; WaveLimiterHint : 1
; COMPUTE_PGM_RSRC2:SCRATCH_EN: 0
; COMPUTE_PGM_RSRC2:USER_SGPR: 6
; COMPUTE_PGM_RSRC2:TRAP_HANDLER: 0
; COMPUTE_PGM_RSRC2:TGID_X_EN: 1
; COMPUTE_PGM_RSRC2:TGID_Y_EN: 0
; COMPUTE_PGM_RSRC2:TGID_Z_EN: 0
; COMPUTE_PGM_RSRC2:TIDIG_COMP_CNT: 0
	.type	__hip_cuid_84a61bcb695f7f3c,@object ; @__hip_cuid_84a61bcb695f7f3c
	.section	.bss,"aw",@nobits
	.globl	__hip_cuid_84a61bcb695f7f3c
__hip_cuid_84a61bcb695f7f3c:
	.byte	0                               ; 0x0
	.size	__hip_cuid_84a61bcb695f7f3c, 1

	.ident	"AMD clang version 19.0.0git (https://github.com/RadeonOpenCompute/llvm-project roc-6.4.0 25133 c7fe45cf4b819c5991fe208aaa96edf142730f1d)"
	.section	".note.GNU-stack","",@progbits
	.addrsig
	.addrsig_sym __hip_cuid_84a61bcb695f7f3c
	.amdgpu_metadata
---
amdhsa.kernels:
  - .args:
      - .actual_access:  read_only
        .address_space:  global
        .offset:         0
        .size:           8
        .value_kind:     global_buffer
      - .offset:         8
        .size:           8
        .value_kind:     by_value
      - .actual_access:  read_only
        .address_space:  global
        .offset:         16
        .size:           8
        .value_kind:     global_buffer
      - .actual_access:  read_only
        .address_space:  global
        .offset:         24
        .size:           8
        .value_kind:     global_buffer
      - .offset:         32
        .size:           8
        .value_kind:     by_value
      - .actual_access:  read_only
        .address_space:  global
        .offset:         40
        .size:           8
        .value_kind:     global_buffer
      - .actual_access:  read_only
        .address_space:  global
        .offset:         48
        .size:           8
        .value_kind:     global_buffer
      - .offset:         56
        .size:           4
        .value_kind:     by_value
      - .actual_access:  read_only
        .address_space:  global
        .offset:         64
        .size:           8
        .value_kind:     global_buffer
      - .actual_access:  read_only
        .address_space:  global
        .offset:         72
        .size:           8
        .value_kind:     global_buffer
      - .address_space:  global
        .offset:         80
        .size:           8
        .value_kind:     global_buffer
    .group_segment_fixed_size: 0
    .kernarg_segment_align: 8
    .kernarg_segment_size: 88
    .language:       OpenCL C
    .language_version:
      - 2
      - 0
    .max_flat_workgroup_size: 102
    .name:           fft_rtc_fwd_len1530_factors_17_3_6_5_wgs_102_tpt_102_halfLds_sp_ip_CI_sbrr_dirReg
    .private_segment_fixed_size: 0
    .sgpr_count:     28
    .sgpr_spill_count: 0
    .symbol:         fft_rtc_fwd_len1530_factors_17_3_6_5_wgs_102_tpt_102_halfLds_sp_ip_CI_sbrr_dirReg.kd
    .uniform_work_group_size: 1
    .uses_dynamic_stack: false
    .vgpr_count:     94
    .vgpr_spill_count: 0
    .wavefront_size: 64
amdhsa.target:   amdgcn-amd-amdhsa--gfx906
amdhsa.version:
  - 1
  - 2
...

	.end_amdgpu_metadata
